;; amdgpu-corpus repo=ROCm/rocFFT kind=compiled arch=gfx1030 opt=O3
	.text
	.amdgcn_target "amdgcn-amd-amdhsa--gfx1030"
	.amdhsa_code_object_version 6
	.protected	fft_rtc_back_len3375_factors_5_5_5_3_3_3_wgs_225_tpt_225_halfLds_dp_ip_CI_sbrr_dirReg ; -- Begin function fft_rtc_back_len3375_factors_5_5_5_3_3_3_wgs_225_tpt_225_halfLds_dp_ip_CI_sbrr_dirReg
	.globl	fft_rtc_back_len3375_factors_5_5_5_3_3_3_wgs_225_tpt_225_halfLds_dp_ip_CI_sbrr_dirReg
	.p2align	8
	.type	fft_rtc_back_len3375_factors_5_5_5_3_3_3_wgs_225_tpt_225_halfLds_dp_ip_CI_sbrr_dirReg,@function
fft_rtc_back_len3375_factors_5_5_5_3_3_3_wgs_225_tpt_225_halfLds_dp_ip_CI_sbrr_dirReg: ; @fft_rtc_back_len3375_factors_5_5_5_3_3_3_wgs_225_tpt_225_halfLds_dp_ip_CI_sbrr_dirReg
; %bb.0:
	s_clause 0x2
	s_load_dwordx2 s[14:15], s[4:5], 0x18
	s_load_dwordx4 s[8:11], s[4:5], 0x0
	s_load_dwordx2 s[12:13], s[4:5], 0x50
	v_mul_u32_u24_e32 v1, 0x124, v0
	v_mov_b32_e32 v3, 0
	v_add_nc_u32_sdwa v5, s6, v1 dst_sel:DWORD dst_unused:UNUSED_PAD src0_sel:DWORD src1_sel:WORD_1
	v_mov_b32_e32 v1, 0
	v_mov_b32_e32 v6, v3
	v_mov_b32_e32 v2, 0
	s_waitcnt lgkmcnt(0)
	s_load_dwordx2 s[2:3], s[14:15], 0x0
	v_cmp_lt_u64_e64 s0, s[10:11], 2
	s_and_b32 vcc_lo, exec_lo, s0
	s_cbranch_vccnz .LBB0_8
; %bb.1:
	s_load_dwordx2 s[0:1], s[4:5], 0x10
	v_mov_b32_e32 v1, 0
	s_add_u32 s6, s14, 8
	v_mov_b32_e32 v2, 0
	s_addc_u32 s7, s15, 0
	s_mov_b64 s[18:19], 1
	s_waitcnt lgkmcnt(0)
	s_add_u32 s16, s0, 8
	s_addc_u32 s17, s1, 0
.LBB0_2:                                ; =>This Inner Loop Header: Depth=1
	s_load_dwordx2 s[20:21], s[16:17], 0x0
                                        ; implicit-def: $vgpr7_vgpr8
	s_mov_b32 s0, exec_lo
	s_waitcnt lgkmcnt(0)
	v_or_b32_e32 v4, s21, v6
	v_cmpx_ne_u64_e32 0, v[3:4]
	s_xor_b32 s1, exec_lo, s0
	s_cbranch_execz .LBB0_4
; %bb.3:                                ;   in Loop: Header=BB0_2 Depth=1
	v_cvt_f32_u32_e32 v4, s20
	v_cvt_f32_u32_e32 v7, s21
	s_sub_u32 s0, 0, s20
	s_subb_u32 s22, 0, s21
	v_fmac_f32_e32 v4, 0x4f800000, v7
	v_rcp_f32_e32 v4, v4
	v_mul_f32_e32 v4, 0x5f7ffffc, v4
	v_mul_f32_e32 v7, 0x2f800000, v4
	v_trunc_f32_e32 v7, v7
	v_fmac_f32_e32 v4, 0xcf800000, v7
	v_cvt_u32_f32_e32 v7, v7
	v_cvt_u32_f32_e32 v4, v4
	v_mul_lo_u32 v8, s0, v7
	v_mul_hi_u32 v9, s0, v4
	v_mul_lo_u32 v10, s22, v4
	v_add_nc_u32_e32 v8, v9, v8
	v_mul_lo_u32 v9, s0, v4
	v_add_nc_u32_e32 v8, v8, v10
	v_mul_hi_u32 v10, v4, v9
	v_mul_lo_u32 v11, v4, v8
	v_mul_hi_u32 v12, v4, v8
	v_mul_hi_u32 v13, v7, v9
	v_mul_lo_u32 v9, v7, v9
	v_mul_hi_u32 v14, v7, v8
	v_mul_lo_u32 v8, v7, v8
	v_add_co_u32 v10, vcc_lo, v10, v11
	v_add_co_ci_u32_e32 v11, vcc_lo, 0, v12, vcc_lo
	v_add_co_u32 v9, vcc_lo, v10, v9
	v_add_co_ci_u32_e32 v9, vcc_lo, v11, v13, vcc_lo
	v_add_co_ci_u32_e32 v10, vcc_lo, 0, v14, vcc_lo
	v_add_co_u32 v8, vcc_lo, v9, v8
	v_add_co_ci_u32_e32 v9, vcc_lo, 0, v10, vcc_lo
	v_add_co_u32 v4, vcc_lo, v4, v8
	v_add_co_ci_u32_e32 v7, vcc_lo, v7, v9, vcc_lo
	v_mul_hi_u32 v8, s0, v4
	v_mul_lo_u32 v10, s22, v4
	v_mul_lo_u32 v9, s0, v7
	v_add_nc_u32_e32 v8, v8, v9
	v_mul_lo_u32 v9, s0, v4
	v_add_nc_u32_e32 v8, v8, v10
	v_mul_hi_u32 v10, v4, v9
	v_mul_lo_u32 v11, v4, v8
	v_mul_hi_u32 v12, v4, v8
	v_mul_hi_u32 v13, v7, v9
	v_mul_lo_u32 v9, v7, v9
	v_mul_hi_u32 v14, v7, v8
	v_mul_lo_u32 v8, v7, v8
	v_add_co_u32 v10, vcc_lo, v10, v11
	v_add_co_ci_u32_e32 v11, vcc_lo, 0, v12, vcc_lo
	v_add_co_u32 v9, vcc_lo, v10, v9
	v_add_co_ci_u32_e32 v9, vcc_lo, v11, v13, vcc_lo
	v_add_co_ci_u32_e32 v10, vcc_lo, 0, v14, vcc_lo
	v_add_co_u32 v8, vcc_lo, v9, v8
	v_add_co_ci_u32_e32 v9, vcc_lo, 0, v10, vcc_lo
	v_add_co_u32 v4, vcc_lo, v4, v8
	v_add_co_ci_u32_e32 v11, vcc_lo, v7, v9, vcc_lo
	v_mul_hi_u32 v13, v5, v4
	v_mad_u64_u32 v[9:10], null, v6, v4, 0
	v_mad_u64_u32 v[7:8], null, v5, v11, 0
	;; [unrolled: 1-line block ×3, first 2 shown]
	v_add_co_u32 v4, vcc_lo, v13, v7
	v_add_co_ci_u32_e32 v7, vcc_lo, 0, v8, vcc_lo
	v_add_co_u32 v4, vcc_lo, v4, v9
	v_add_co_ci_u32_e32 v4, vcc_lo, v7, v10, vcc_lo
	v_add_co_ci_u32_e32 v7, vcc_lo, 0, v12, vcc_lo
	v_add_co_u32 v4, vcc_lo, v4, v11
	v_add_co_ci_u32_e32 v9, vcc_lo, 0, v7, vcc_lo
	v_mul_lo_u32 v10, s21, v4
	v_mad_u64_u32 v[7:8], null, s20, v4, 0
	v_mul_lo_u32 v11, s20, v9
	v_sub_co_u32 v7, vcc_lo, v5, v7
	v_add3_u32 v8, v8, v11, v10
	v_sub_nc_u32_e32 v10, v6, v8
	v_subrev_co_ci_u32_e64 v10, s0, s21, v10, vcc_lo
	v_add_co_u32 v11, s0, v4, 2
	v_add_co_ci_u32_e64 v12, s0, 0, v9, s0
	v_sub_co_u32 v13, s0, v7, s20
	v_sub_co_ci_u32_e32 v8, vcc_lo, v6, v8, vcc_lo
	v_subrev_co_ci_u32_e64 v10, s0, 0, v10, s0
	v_cmp_le_u32_e32 vcc_lo, s20, v13
	v_cmp_eq_u32_e64 s0, s21, v8
	v_cndmask_b32_e64 v13, 0, -1, vcc_lo
	v_cmp_le_u32_e32 vcc_lo, s21, v10
	v_cndmask_b32_e64 v14, 0, -1, vcc_lo
	v_cmp_le_u32_e32 vcc_lo, s20, v7
	;; [unrolled: 2-line block ×3, first 2 shown]
	v_cndmask_b32_e64 v15, 0, -1, vcc_lo
	v_cmp_eq_u32_e32 vcc_lo, s21, v10
	v_cndmask_b32_e64 v7, v15, v7, s0
	v_cndmask_b32_e32 v10, v14, v13, vcc_lo
	v_add_co_u32 v13, vcc_lo, v4, 1
	v_add_co_ci_u32_e32 v14, vcc_lo, 0, v9, vcc_lo
	v_cmp_ne_u32_e32 vcc_lo, 0, v10
	v_cndmask_b32_e32 v8, v14, v12, vcc_lo
	v_cndmask_b32_e32 v10, v13, v11, vcc_lo
	v_cmp_ne_u32_e32 vcc_lo, 0, v7
	v_cndmask_b32_e32 v8, v9, v8, vcc_lo
	v_cndmask_b32_e32 v7, v4, v10, vcc_lo
.LBB0_4:                                ;   in Loop: Header=BB0_2 Depth=1
	s_andn2_saveexec_b32 s0, s1
	s_cbranch_execz .LBB0_6
; %bb.5:                                ;   in Loop: Header=BB0_2 Depth=1
	v_cvt_f32_u32_e32 v4, s20
	s_sub_i32 s1, 0, s20
	v_rcp_iflag_f32_e32 v4, v4
	v_mul_f32_e32 v4, 0x4f7ffffe, v4
	v_cvt_u32_f32_e32 v4, v4
	v_mul_lo_u32 v7, s1, v4
	v_mul_hi_u32 v7, v4, v7
	v_add_nc_u32_e32 v4, v4, v7
	v_mul_hi_u32 v4, v5, v4
	v_mul_lo_u32 v7, v4, s20
	v_add_nc_u32_e32 v8, 1, v4
	v_sub_nc_u32_e32 v7, v5, v7
	v_subrev_nc_u32_e32 v9, s20, v7
	v_cmp_le_u32_e32 vcc_lo, s20, v7
	v_cndmask_b32_e32 v7, v7, v9, vcc_lo
	v_cndmask_b32_e32 v4, v4, v8, vcc_lo
	v_cmp_le_u32_e32 vcc_lo, s20, v7
	v_add_nc_u32_e32 v8, 1, v4
	v_cndmask_b32_e32 v7, v4, v8, vcc_lo
	v_mov_b32_e32 v8, v3
.LBB0_6:                                ;   in Loop: Header=BB0_2 Depth=1
	s_or_b32 exec_lo, exec_lo, s0
	s_load_dwordx2 s[0:1], s[6:7], 0x0
	v_mul_lo_u32 v4, v8, s20
	v_mul_lo_u32 v11, v7, s21
	v_mad_u64_u32 v[9:10], null, v7, s20, 0
	s_add_u32 s18, s18, 1
	s_addc_u32 s19, s19, 0
	s_add_u32 s6, s6, 8
	s_addc_u32 s7, s7, 0
	;; [unrolled: 2-line block ×3, first 2 shown]
	v_add3_u32 v4, v10, v11, v4
	v_sub_co_u32 v5, vcc_lo, v5, v9
	v_sub_co_ci_u32_e32 v4, vcc_lo, v6, v4, vcc_lo
	s_waitcnt lgkmcnt(0)
	v_mul_lo_u32 v6, s1, v5
	v_mul_lo_u32 v4, s0, v4
	v_mad_u64_u32 v[1:2], null, s0, v5, v[1:2]
	v_cmp_ge_u64_e64 s0, s[18:19], s[10:11]
	s_and_b32 vcc_lo, exec_lo, s0
	v_add3_u32 v2, v6, v2, v4
	s_cbranch_vccnz .LBB0_9
; %bb.7:                                ;   in Loop: Header=BB0_2 Depth=1
	v_mov_b32_e32 v5, v7
	v_mov_b32_e32 v6, v8
	s_branch .LBB0_2
.LBB0_8:
	v_mov_b32_e32 v8, v6
	v_mov_b32_e32 v7, v5
.LBB0_9:
	s_lshl_b64 s[0:1], s[10:11], 3
	v_mul_hi_u32 v3, 0x1234568, v0
	s_add_u32 s0, s14, s0
	s_addc_u32 s1, s15, s1
	s_load_dwordx2 s[4:5], s[4:5], 0x20
	s_load_dwordx2 s[0:1], s[0:1], 0x0
                                        ; implicit-def: $vgpr109
                                        ; implicit-def: $vgpr110
                                        ; implicit-def: $vgpr111
                                        ; implicit-def: $vgpr112
	v_mul_u32_u24_e32 v3, 0xe1, v3
	v_sub_nc_u32_e32 v99, v0, v3
	v_add_nc_u32_e32 v100, 0xe1, v99
	v_add_nc_u32_e32 v97, 0x1c2, v99
	;; [unrolled: 1-line block ×4, first 2 shown]
	s_waitcnt lgkmcnt(0)
	v_cmp_gt_u64_e32 vcc_lo, s[4:5], v[7:8]
	v_mul_lo_u32 v3, s0, v8
	v_mul_lo_u32 v4, s1, v7
	v_mad_u64_u32 v[0:1], null, s0, v7, v[1:2]
	v_cmp_le_u64_e64 s0, s[4:5], v[7:8]
	v_add3_u32 v1, v4, v1, v3
	s_and_saveexec_b32 s1, s0
	s_xor_b32 s0, exec_lo, s1
; %bb.10:
	v_add_nc_u32_e32 v109, 0xe1, v99
	v_add_nc_u32_e32 v110, 0x1c2, v99
	;; [unrolled: 1-line block ×4, first 2 shown]
; %bb.11:
	s_or_saveexec_b32 s1, s0
	v_lshlrev_b64 v[76:77], 4, v[0:1]
	v_add_nc_u32_e32 v105, 0x546, v99
	v_add_nc_u32_e32 v102, 0xa8c, v99
	;; [unrolled: 1-line block ×8, first 2 shown]
                                        ; implicit-def: $vgpr2_vgpr3
                                        ; implicit-def: $vgpr14_vgpr15
                                        ; implicit-def: $vgpr22_vgpr23
                                        ; implicit-def: $vgpr26_vgpr27
                                        ; implicit-def: $vgpr30_vgpr31
                                        ; implicit-def: $vgpr6_vgpr7
                                        ; implicit-def: $vgpr18_vgpr19
                                        ; implicit-def: $vgpr38_vgpr39
                                        ; implicit-def: $vgpr34_vgpr35
                                        ; implicit-def: $vgpr46_vgpr47
                                        ; implicit-def: $vgpr42_vgpr43
                                        ; implicit-def: $vgpr54_vgpr55
                                        ; implicit-def: $vgpr58_vgpr59
                                        ; implicit-def: $vgpr50_vgpr51
                                        ; implicit-def: $vgpr10_vgpr11
	s_xor_b32 exec_lo, exec_lo, s1
	s_cbranch_execz .LBB0_13
; %bb.12:
	v_mad_u64_u32 v[0:1], null, s2, v99, 0
	v_mad_u64_u32 v[2:3], null, s2, v96, 0
	;; [unrolled: 1-line block ×3, first 2 shown]
	v_add_nc_u32_e32 v9, 0x7e9, v99
	v_add_co_u32 v34, s0, s12, v76
	v_add_co_ci_u32_e64 v35, s0, s13, v77, s0
	v_mad_u64_u32 v[6:7], null, s3, v99, v[1:2]
	v_mad_u64_u32 v[7:8], null, s3, v96, v[3:4]
	;; [unrolled: 1-line block ×4, first 2 shown]
	v_mov_b32_e32 v1, v6
	v_mad_u64_u32 v[5:6], null, s3, v105, v[5:6]
	v_mov_b32_e32 v3, v7
	v_mov_b32_e32 v6, v13
	v_lshlrev_b64 v[0:1], 4, v[0:1]
	v_mad_u64_u32 v[19:20], null, s2, v106, 0
	v_lshlrev_b64 v[2:3], 4, v[2:3]
	v_mad_u64_u32 v[6:7], null, s3, v9, v[6:7]
	v_add_co_u32 v0, s0, v34, v0
	v_add_co_ci_u32_e64 v1, s0, v35, v1, s0
	v_add_co_u32 v2, s0, v34, v2
	v_add_co_ci_u32_e64 v3, s0, v35, v3, s0
	s_clause 0x1
	global_load_dwordx4 v[8:11], v[0:1], off
	global_load_dwordx4 v[48:51], v[2:3], off
	v_lshlrev_b64 v[1:2], 4, v[4:5]
	v_mad_u64_u32 v[3:4], null, s2, v100, 0
	v_mov_b32_e32 v0, v15
	v_mov_b32_e32 v13, v6
	v_mad_u64_u32 v[24:25], null, s2, v97, 0
	v_mad_u64_u32 v[28:29], null, s2, v107, 0
	;; [unrolled: 1-line block ×3, first 2 shown]
	v_add_co_u32 v0, s0, v34, v1
	v_add_co_ci_u32_e64 v1, s0, v35, v2, s0
	v_mov_b32_e32 v2, v4
	v_lshlrev_b64 v[5:6], 4, v[12:13]
	v_mad_u64_u32 v[12:13], null, s2, v98, 0
	v_add_nc_u32_e32 v36, 0xc4e, v99
	v_mad_u64_u32 v[16:17], null, s3, v100, v[2:3]
	v_mad_u64_u32 v[17:18], null, s2, v103, 0
	v_add_co_u32 v5, s0, v34, v5
	v_mov_b32_e32 v2, v13
	v_lshlrev_b64 v[13:14], 4, v[14:15]
	v_mov_b32_e32 v4, v16
	v_add_co_ci_u32_e64 v6, s0, v35, v6, s0
	v_mov_b32_e32 v7, v18
	v_mad_u64_u32 v[15:16], null, s3, v98, v[2:3]
	v_lshlrev_b64 v[2:3], 4, v[3:4]
	v_mov_b32_e32 v4, v20
	s_clause 0x1
	global_load_dwordx4 v[56:59], v[0:1], off
	global_load_dwordx4 v[52:55], v[5:6], off
	v_mov_b32_e32 v112, v98
	v_mov_b32_e32 v111, v96
	;; [unrolled: 1-line block ×4, first 2 shown]
	s_waitcnt vmcnt(3)
	v_mad_u64_u32 v[21:22], null, s3, v103, v[7:8]
	v_add_co_u32 v22, s0, v34, v13
	v_add_co_ci_u32_e64 v23, s0, v35, v14, s0
	v_mov_b32_e32 v13, v15
	v_mad_u64_u32 v[14:15], null, s2, v101, 0
	v_mov_b32_e32 v18, v21
	v_mad_u64_u32 v[20:21], null, s3, v106, v[4:5]
	v_lshlrev_b64 v[12:13], 4, v[12:13]
	v_add_co_u32 v2, s0, v34, v2
	v_mov_b32_e32 v4, v15
	v_lshlrev_b64 v[16:17], 4, v[17:18]
	v_add_co_ci_u32_e64 v3, s0, v35, v3, s0
	v_lshlrev_b64 v[18:19], 4, v[19:20]
	v_mad_u64_u32 v[26:27], null, s3, v101, v[4:5]
	v_mov_b32_e32 v4, v25
	v_add_co_u32 v12, s0, v34, v12
	v_add_co_ci_u32_e64 v13, s0, v35, v13, s0
	v_mad_u64_u32 v[20:21], null, s3, v97, v[4:5]
	v_mov_b32_e32 v15, v26
	v_mad_u64_u32 v[26:27], null, s2, v108, 0
	v_add_co_u32 v16, s0, v34, v16
	v_lshlrev_b64 v[14:15], 4, v[14:15]
	v_mov_b32_e32 v25, v20
	v_mad_u64_u32 v[20:21], null, s2, v104, 0
	v_mov_b32_e32 v4, v27
	v_add_co_ci_u32_e64 v17, s0, v35, v17, s0
	v_add_co_u32 v18, s0, v34, v18
	v_mad_u64_u32 v[30:31], null, s3, v108, v[4:5]
	v_mov_b32_e32 v7, v21
	v_mov_b32_e32 v4, v29
	v_lshlrev_b64 v[24:25], 4, v[24:25]
	v_add_co_ci_u32_e64 v19, s0, v35, v19, s0
	v_mad_u64_u32 v[31:32], null, s3, v104, v[7:8]
	v_mad_u64_u32 v[32:33], null, s2, v36, 0
	v_mov_b32_e32 v27, v30
	v_mad_u64_u32 v[29:30], null, s3, v107, v[4:5]
	v_add_co_u32 v14, s0, v34, v14
	v_mov_b32_e32 v21, v31
	v_mov_b32_e32 v4, v33
	v_lshlrev_b64 v[0:1], 4, v[26:27]
	v_add_co_ci_u32_e64 v15, s0, v35, v15, s0
	v_add_co_u32 v24, s0, v34, v24
	v_mad_u64_u32 v[4:5], null, s3, v36, v[4:5]
	v_lshlrev_b64 v[5:6], 4, v[20:21]
	v_add_co_ci_u32_e64 v25, s0, v35, v25, s0
	v_add_co_u32 v0, s0, v34, v0
	v_lshlrev_b64 v[20:21], 4, v[28:29]
	v_mov_b32_e32 v33, v4
	v_add_co_ci_u32_e64 v1, s0, v35, v1, s0
	v_add_co_u32 v60, s0, v34, v5
	v_lshlrev_b64 v[4:5], 4, v[32:33]
	v_add_co_ci_u32_e64 v61, s0, v35, v6, s0
	v_add_co_u32 v62, s0, v34, v20
	v_add_co_ci_u32_e64 v63, s0, v35, v21, s0
	s_clause 0x1
	global_load_dwordx4 v[40:43], v[22:23], off
	global_load_dwordx4 v[44:47], v[2:3], off
	v_add_co_u32 v2, s0, v34, v4
	v_add_co_ci_u32_e64 v3, s0, v35, v5, s0
	s_clause 0x8
	global_load_dwordx4 v[32:35], v[12:13], off
	global_load_dwordx4 v[36:39], v[16:17], off
	;; [unrolled: 1-line block ×9, first 2 shown]
.LBB0_13:
	s_or_b32 exec_lo, exec_lo, s1
	s_waitcnt vmcnt(11)
	v_add_f64 v[60:61], v[52:53], v[56:57]
	s_waitcnt vmcnt(10)
	v_add_f64 v[62:63], v[40:41], v[48:49]
	v_add_f64 v[64:65], v[54:55], v[58:59]
	;; [unrolled: 1-line block ×5, first 2 shown]
	v_add_f64 v[72:73], v[50:51], -v[42:43]
	v_add_f64 v[74:75], v[58:59], -v[54:55]
	s_waitcnt vmcnt(6)
	v_add_f64 v[92:93], v[16:17], v[36:37]
	s_mov_b32 s4, 0x134454ff
	s_mov_b32 s5, 0xbfee6f0e
	;; [unrolled: 1-line block ×4, first 2 shown]
	v_add_f64 v[78:79], v[48:49], -v[56:57]
	v_add_f64 v[80:81], v[40:41], -v[52:53]
	;; [unrolled: 1-line block ×8, first 2 shown]
	s_waitcnt vmcnt(5)
	v_add_f64 v[121:122], v[34:35], -v[6:7]
	v_fma_f64 v[60:61], v[60:61], -0.5, v[8:9]
	v_fma_f64 v[8:9], v[62:63], -0.5, v[8:9]
	;; [unrolled: 1-line block ×3, first 2 shown]
	v_add_f64 v[64:65], v[4:5], v[32:33]
	v_add_f64 v[56:57], v[56:57], v[66:67]
	;; [unrolled: 1-line block ×3, first 2 shown]
	v_fma_f64 v[10:11], v[70:71], -0.5, v[10:11]
	s_mov_b32 s10, 0x4755a5e
	v_fma_f64 v[68:69], v[92:93], -0.5, v[44:45]
	s_mov_b32 s11, 0xbfe2cf23
	s_mov_b32 s15, 0x3fe2cf23
	;; [unrolled: 1-line block ×3, first 2 shown]
	v_add_f64 v[90:91], v[42:43], -v[54:55]
	v_add_f64 v[94:95], v[54:55], -v[42:43]
	;; [unrolled: 1-line block ×4, first 2 shown]
	v_add_f64 v[117:118], v[18:19], v[38:39]
	v_add_f64 v[123:124], v[32:33], v[44:45]
	v_add_f64 v[125:126], v[38:39], -v[18:19]
	s_waitcnt vmcnt(1)
	v_add_f64 v[133:134], v[12:13], v[20:21]
	v_add_f64 v[78:79], v[80:81], v[78:79]
	s_mov_b32 s16, 0x372fe950
	v_fma_f64 v[70:71], v[72:73], s[4:5], v[60:61]
	v_fma_f64 v[60:61], v[72:73], s[6:7], v[60:61]
	;; [unrolled: 1-line block ×5, first 2 shown]
	v_fma_f64 v[44:45], v[64:65], -0.5, v[44:45]
	v_add_f64 v[64:65], v[86:87], v[82:83]
	v_fma_f64 v[62:63], v[48:49], s[4:5], v[62:63]
	v_add_f64 v[52:53], v[52:53], v[56:57]
	v_add_f64 v[54:55], v[54:55], v[58:59]
	v_fma_f64 v[56:57], v[88:89], s[4:5], v[10:11]
	v_fma_f64 v[10:11], v[88:89], s[6:7], v[10:11]
	v_fma_f64 v[58:59], v[121:122], s[4:5], v[68:69]
	s_waitcnt vmcnt(0)
	v_add_f64 v[82:83], v[0:1], v[24:25]
	s_mov_b32 s17, 0x3fd3c6ef
	v_add_f64 v[119:120], v[6:7], v[34:35]
	v_add_f64 v[66:67], v[34:35], v[46:47]
	v_add_f64 v[129:130], v[32:33], -v[4:5]
	v_fma_f64 v[68:69], v[121:122], s[6:7], v[68:69]
	v_add_f64 v[86:87], v[2:3], v[26:27]
	v_add_f64 v[50:51], v[94:95], v[50:51]
	v_add_f64 v[32:33], v[36:37], -v[32:33]
	v_fma_f64 v[70:71], v[74:75], s[10:11], v[70:71]
	v_fma_f64 v[60:61], v[74:75], s[14:15], v[60:61]
	;; [unrolled: 1-line block ×4, first 2 shown]
	v_add_f64 v[72:73], v[90:91], v[84:85]
	v_fma_f64 v[80:81], v[88:89], s[14:15], v[127:128]
	v_add_f64 v[84:85], v[14:15], v[22:23]
	v_add_f64 v[90:91], v[115:116], v[113:114]
	v_fma_f64 v[92:93], v[117:118], -0.5, v[46:47]
	v_fma_f64 v[94:95], v[125:126], s[6:7], v[44:45]
	v_fma_f64 v[44:45], v[125:126], s[4:5], v[44:45]
	;; [unrolled: 1-line block ×3, first 2 shown]
	v_add_f64 v[40:41], v[40:41], v[52:53]
	v_fma_f64 v[52:53], v[48:49], s[14:15], v[56:57]
	v_fma_f64 v[10:11], v[48:49], s[10:11], v[10:11]
	;; [unrolled: 1-line block ×3, first 2 shown]
	v_add_f64 v[88:89], v[24:25], v[28:29]
	v_add_f64 v[113:114], v[22:23], -v[14:15]
	v_add_f64 v[131:132], v[16:17], -v[4:5]
	v_fma_f64 v[46:47], v[119:120], -0.5, v[46:47]
	v_add_f64 v[42:43], v[42:43], v[54:55]
	v_fma_f64 v[54:55], v[125:126], s[14:15], v[68:69]
	v_fma_f64 v[56:57], v[78:79], s[16:17], v[70:71]
	;; [unrolled: 1-line block ×4, first 2 shown]
	v_fma_f64 v[74:75], v[133:134], -0.5, v[28:29]
	v_add_f64 v[78:79], v[26:27], -v[2:3]
	v_fma_f64 v[28:29], v[82:83], -0.5, v[28:29]
	v_fma_f64 v[8:9], v[64:65], s[16:17], v[8:9]
	v_add_f64 v[64:65], v[36:37], v[123:124]
	v_fma_f64 v[68:69], v[72:73], s[16:17], v[80:81]
	v_add_f64 v[66:67], v[38:39], v[66:67]
	v_add_f64 v[70:71], v[34:35], -v[38:39]
	v_fma_f64 v[62:63], v[72:73], s[16:17], v[62:63]
	v_add_f64 v[34:35], v[38:39], -v[34:35]
	v_fma_f64 v[38:39], v[129:130], s[6:7], v[92:93]
	v_fma_f64 v[72:73], v[129:130], s[4:5], v[92:93]
	v_fma_f64 v[82:83], v[84:85], -0.5, v[30:31]
	v_add_f64 v[84:85], v[26:27], v[30:31]
	v_add_f64 v[92:93], v[24:25], -v[0:1]
	v_fma_f64 v[30:31], v[86:87], -0.5, v[30:31]
	v_add_f64 v[86:87], v[20:21], -v[12:13]
	v_fma_f64 v[94:95], v[121:122], s[10:11], v[94:95]
	v_fma_f64 v[44:45], v[121:122], s[14:15], v[44:45]
	v_add_f64 v[119:120], v[24:25], -v[20:21]
	v_add_f64 v[121:122], v[0:1], -v[12:13]
	v_add_f64 v[24:25], v[20:21], -v[24:25]
	v_add_f64 v[20:21], v[20:21], v[88:89]
	v_fma_f64 v[123:124], v[78:79], s[4:5], v[74:75]
	v_add_f64 v[88:89], v[12:13], -v[0:1]
	v_fma_f64 v[125:126], v[113:114], s[6:7], v[28:29]
	v_fma_f64 v[74:75], v[78:79], s[6:7], v[74:75]
	v_add_f64 v[80:81], v[6:7], -v[18:19]
	v_fma_f64 v[28:29], v[113:114], s[4:5], v[28:29]
	v_add_f64 v[36:37], v[36:37], -v[16:17]
	v_add_f64 v[32:33], v[131:132], v[32:33]
	v_add_f64 v[115:116], v[18:19], -v[6:7]
	v_add_f64 v[127:128], v[26:27], -v[22:23]
	;; [unrolled: 1-line block ×4, first 2 shown]
	v_add_f64 v[22:23], v[22:23], v[84:85]
	v_fma_f64 v[84:85], v[92:93], s[6:7], v[82:83]
	v_fma_f64 v[82:83], v[92:93], s[4:5], v[82:83]
	;; [unrolled: 1-line block ×4, first 2 shown]
	v_add_f64 v[16:17], v[16:17], v[64:65]
	v_add_f64 v[18:19], v[18:19], v[66:67]
	;; [unrolled: 1-line block ×3, first 2 shown]
	v_add_f64 v[131:132], v[2:3], -v[14:15]
	v_add_f64 v[12:13], v[12:13], v[20:21]
	v_fma_f64 v[52:53], v[50:51], s[16:17], v[52:53]
	v_add_f64 v[20:21], v[88:89], v[24:25]
	v_fma_f64 v[24:25], v[78:79], s[10:11], v[125:126]
	v_fma_f64 v[74:75], v[113:114], s[14:15], v[74:75]
	v_add_f64 v[64:65], v[80:81], v[70:71]
	v_fma_f64 v[70:71], v[113:114], s[10:11], v[123:124]
	v_fma_f64 v[28:29], v[78:79], s[14:15], v[28:29]
	;; [unrolled: 1-line block ×6, first 2 shown]
	v_add_f64 v[26:27], v[133:134], v[26:27]
	v_add_f64 v[14:15], v[14:15], v[22:23]
	v_fma_f64 v[50:51], v[50:51], s[16:17], v[10:11]
	v_fma_f64 v[80:81], v[86:87], s[10:11], v[82:83]
	;; [unrolled: 1-line block ×4, first 2 shown]
	v_add_f64 v[4:5], v[4:5], v[16:17]
	v_fma_f64 v[10:11], v[90:91], s[16:17], v[48:49]
	v_fma_f64 v[48:49], v[32:33], s[16:17], v[94:95]
	;; [unrolled: 1-line block ×3, first 2 shown]
	v_add_f64 v[0:1], v[0:1], v[12:13]
	v_fma_f64 v[16:17], v[90:91], s[16:17], v[54:55]
	v_add_f64 v[44:45], v[6:7], v[18:19]
	v_fma_f64 v[12:13], v[20:21], s[16:17], v[24:25]
	v_fma_f64 v[24:25], v[66:67], s[16:17], v[74:75]
	v_add_f64 v[34:35], v[115:116], v[34:35]
	v_fma_f64 v[6:7], v[66:67], s[16:17], v[70:71]
	v_fma_f64 v[18:19], v[20:21], s[16:17], v[28:29]
	;; [unrolled: 1-line block ×4, first 2 shown]
	v_add_f64 v[78:79], v[131:132], v[127:128]
	v_fma_f64 v[22:23], v[86:87], s[14:15], v[84:85]
	v_fma_f64 v[20:21], v[64:65], s[16:17], v[38:39]
	;; [unrolled: 1-line block ×3, first 2 shown]
	v_mad_u32_u24 v64, v99, 40, 0
	v_mad_i32_i24 v113, v109, 40, 0
	v_mad_i32_i24 v114, v110, 40, 0
	v_and_b32_e32 v88, 0xff, v99
	v_add_f64 v[38:39], v[2:3], v[14:15]
	v_fma_f64 v[54:55], v[26:27], s[16:17], v[82:83]
	v_fma_f64 v[26:27], v[26:27], s[16:17], v[30:31]
	ds_write2_b64 v64, v[40:41], v[56:57] offset1:1
	ds_write2_b64 v64, v[60:61], v[8:9] offset0:2 offset1:3
	ds_write_b64 v64, v[58:59] offset:32
	ds_write2_b64 v113, v[4:5], v[10:11] offset1:1
	v_lshlrev_b32_e32 v2, 5, v99
	ds_write2_b64 v113, v[48:49], v[32:33] offset0:2 offset1:3
	ds_write_b64 v113, v[16:17] offset:32
	ds_write2_b64 v114, v[0:1], v[6:7] offset1:1
	ds_write2_b64 v114, v[12:13], v[18:19] offset0:2 offset1:3
	ds_write_b64 v114, v[24:25] offset:32
	v_mul_lo_u16 v24, 0xcd, v88
	v_mov_b32_e32 v30, 0xcccd
	v_sub_nc_u32_e32 v115, v64, v2
	v_lshlrev_b32_e32 v117, 5, v109
	v_lshlrev_b32_e32 v118, 5, v110
	v_lshrrev_b16 v93, 10, v24
	v_mul_u32_u24_sdwa v24, v109, v30 dst_sel:DWORD dst_unused:UNUSED_PAD src0_sel:WORD_0 src1_sel:DWORD
	v_fma_f64 v[36:37], v[34:35], s[16:17], v[72:73]
	v_fma_f64 v[34:35], v[34:35], s[16:17], v[46:47]
	;; [unrolled: 1-line block ×4, first 2 shown]
	v_add_nc_u32_e32 v90, 0x2a00, v115
	v_add_nc_u32_e32 v123, 0x3800, v115
	;; [unrolled: 1-line block ×3, first 2 shown]
	v_sub_nc_u32_e32 v119, v113, v117
	v_sub_nc_u32_e32 v120, v114, v118
	v_lshrrev_b32_e32 v94, 18, v24
	v_lshl_add_u32 v116, v111, 3, 0
	v_add_nc_u32_e32 v124, 0x1c00, v115
	v_add_nc_u32_e32 v122, 0x4600, v115
	v_mul_lo_u16 v25, v93, 5
	s_waitcnt lgkmcnt(0)
	s_barrier
	buffer_gl0_inv
	ds_read_b64 v[80:81], v115
	ds_read2_b64 v[12:15], v90 offset0:6 offset1:231
	ds_read2_b64 v[0:3], v123 offset0:8 offset1:233
	;; [unrolled: 1-line block ×5, first 2 shown]
	ds_read_b64 v[78:79], v120
	ds_read_b64 v[82:83], v119
	;; [unrolled: 1-line block ×3, first 2 shown]
	ds_read_b64 v[84:85], v115 offset:25200
	s_waitcnt lgkmcnt(0)
	s_barrier
	buffer_gl0_inv
	ds_write2_b64 v64, v[42:43], v[68:69] offset1:1
	ds_write2_b64 v64, v[52:53], v[50:51] offset0:2 offset1:3
	ds_write_b64 v64, v[62:63] offset:32
	ds_write2_b64 v113, v[44:45], v[20:21] offset1:1
	v_mul_lo_u16 v20, v94, 5
	v_sub_nc_u16 v95, v99, v25
	v_mov_b32_e32 v92, 6
	ds_write2_b64 v113, v[36:37], v[34:35] offset0:2 offset1:3
	ds_write_b64 v113, v[28:29] offset:32
	ds_write2_b64 v114, v[38:39], v[22:23] offset1:1
	ds_write2_b64 v114, v[54:55], v[26:27] offset0:2 offset1:3
	ds_write_b64 v114, v[46:47] offset:32
	v_sub_nc_u16 v89, v109, v20
	s_waitcnt lgkmcnt(0)
	v_lshlrev_b32_sdwa v20, v92, v95 dst_sel:DWORD dst_unused:UNUSED_PAD src0_sel:DWORD src1_sel:BYTE_0
	s_barrier
	buffer_gl0_inv
	v_lshlrev_b32_sdwa v44, v92, v89 dst_sel:DWORD dst_unused:UNUSED_PAD src0_sel:DWORD src1_sel:WORD_0
	s_clause 0x3
	global_load_dwordx4 v[36:39], v20, s[8:9] offset:16
	global_load_dwordx4 v[40:43], v44, s[8:9] offset:16
	global_load_dwordx4 v[32:35], v20, s[8:9] offset:48
	global_load_dwordx4 v[24:27], v44, s[8:9] offset:48
	v_mul_u32_u24_sdwa v21, v110, v30 dst_sel:DWORD dst_unused:UNUSED_PAD src0_sel:WORD_0 src1_sel:DWORD
	s_clause 0x1
	global_load_dwordx4 v[64:67], v20, s[8:9]
	global_load_dwordx4 v[60:63], v20, s[8:9] offset:32
	v_mov_b32_e32 v151, 0x47af
	v_mul_lo_u16 v88, v88, 41
	v_lshrrev_b32_e32 v126, 18, v21
	v_mov_b32_e32 v147, 0xc8
	v_mul_u32_u24_e32 v152, 0xc8, v94
	v_mul_u32_u24_sdwa v121, v109, v151 dst_sel:DWORD dst_unused:UNUSED_PAD src0_sel:WORD_0 src1_sel:DWORD
	v_lshrrev_b16 v125, 10, v88
	v_mul_lo_u16 v21, v126, 5
	v_mul_u32_u24_sdwa v93, v93, v147 dst_sel:DWORD dst_unused:UNUSED_PAD src0_sel:WORD_0 src1_sel:DWORD
	v_mul_u32_u24_e32 v153, 0xc8, v126
	v_lshrrev_b32_e32 v127, 16, v121
	v_mul_lo_u16 v147, v125, 25
	v_sub_nc_u16 v128, v110, v21
	v_mul_u32_u24_sdwa v151, v110, v151 dst_sel:DWORD dst_unused:UNUSED_PAD src0_sel:WORD_0 src1_sel:DWORD
	v_cmp_gt_u32_e64 s0, 0x7d, v99
	v_sub_nc_u16 v121, v109, v127
	v_lshlrev_b32_sdwa v56, v92, v128 dst_sel:DWORD dst_unused:UNUSED_PAD src0_sel:DWORD src1_sel:WORD_0
	s_clause 0x5
	global_load_dwordx4 v[20:23], v44, s[8:9]
	global_load_dwordx4 v[28:31], v56, s[8:9]
	global_load_dwordx4 v[48:51], v44, s[8:9] offset:32
	global_load_dwordx4 v[44:47], v56, s[8:9] offset:16
	;; [unrolled: 1-line block ×4, first 2 shown]
	ds_read2_b64 v[72:75], v90 offset0:6 offset1:231
	ds_read2_b64 v[68:71], v91 offset0:12 offset1:237
	ds_read_b64 v[141:142], v116
	ds_read2_b64 v[129:132], v123 offset0:8 offset1:233
	ds_read2_b64 v[133:136], v124 offset0:4 offset1:229
	v_lshrrev_b16 v88, 1, v121
	v_mov_b32_e32 v121, 3
	v_add_nc_u16 v88, v88, v127
	v_lshlrev_b32_sdwa v154, v121, v128 dst_sel:DWORD dst_unused:UNUSED_PAD src0_sel:DWORD src1_sel:WORD_0
	v_sub_nc_u16 v127, v99, v147
	v_lshrrev_b16 v126, 4, v88
	v_add3_u32 v153, 0, v153, v154
	v_mul_lo_u16 v156, v126, 25
	s_waitcnt vmcnt(11) lgkmcnt(4)
	v_mul_f64 v[137:138], v[72:73], v[38:39]
	v_mul_f64 v[38:39], v[12:13], v[38:39]
	s_waitcnt vmcnt(10)
	v_mul_f64 v[139:140], v[74:75], v[42:43]
	v_mul_f64 v[42:43], v[14:15], v[42:43]
	s_waitcnt vmcnt(9) lgkmcnt(3)
	v_mul_f64 v[143:144], v[68:69], v[34:35]
	v_mul_f64 v[34:35], v[16:17], v[34:35]
	s_waitcnt vmcnt(8)
	v_mul_f64 v[145:146], v[70:71], v[26:27]
	v_mul_f64 v[26:27], v[18:19], v[26:27]
	v_fma_f64 v[137:138], v[12:13], v[36:37], v[137:138]
	v_fma_f64 v[36:37], v[72:73], v[36:37], -v[38:39]
	v_fma_f64 v[38:39], v[14:15], v[40:41], v[139:140]
	ds_read2_b64 v[12:15], v122 offset0:10 offset1:235
	ds_read_b64 v[72:73], v119
	v_fma_f64 v[40:41], v[74:75], v[40:41], -v[42:43]
	s_waitcnt vmcnt(7) lgkmcnt(4)
	v_mul_f64 v[74:75], v[141:142], v[66:67]
	v_mul_f64 v[66:67], v[86:87], v[66:67]
	s_waitcnt vmcnt(6) lgkmcnt(3)
	v_mul_f64 v[139:140], v[131:132], v[62:63]
	v_fma_f64 v[16:17], v[16:17], v[32:33], v[143:144]
	v_fma_f64 v[32:33], v[68:69], v[32:33], -v[34:35]
	v_mul_f64 v[34:35], v[2:3], v[62:63]
	s_waitcnt vmcnt(5) lgkmcnt(2)
	v_mul_f64 v[68:69], v[133:134], v[22:23]
	v_mul_f64 v[22:23], v[8:9], v[22:23]
	ds_read_b64 v[42:43], v115 offset:25200
	v_fma_f64 v[18:19], v[18:19], v[24:25], v[145:146]
	v_fma_f64 v[24:25], v[70:71], v[24:25], -v[26:27]
	s_waitcnt vmcnt(4)
	v_mul_f64 v[26:27], v[135:136], v[30:31]
	s_waitcnt vmcnt(2)
	v_mul_f64 v[143:144], v[129:130], v[46:47]
	v_mul_f64 v[30:31], v[10:11], v[30:31]
	;; [unrolled: 1-line block ×3, first 2 shown]
	s_waitcnt lgkmcnt(2)
	v_mul_f64 v[70:71], v[12:13], v[50:51]
	v_mul_f64 v[50:51], v[4:5], v[50:51]
	v_fma_f64 v[74:75], v[86:87], v[64:65], v[74:75]
	v_fma_f64 v[64:65], v[141:142], v[64:65], -v[66:67]
	s_waitcnt vmcnt(1)
	v_mul_f64 v[66:67], v[14:15], v[54:55]
	v_fma_f64 v[2:3], v[2:3], v[60:61], v[139:140]
	v_mul_f64 v[54:55], v[6:7], v[54:55]
	v_fma_f64 v[34:35], v[131:132], v[60:61], -v[34:35]
	v_fma_f64 v[8:9], v[8:9], v[20:21], v[68:69]
	v_fma_f64 v[20:21], v[133:134], v[20:21], -v[22:23]
	ds_read_b64 v[22:23], v120
	ds_read_b64 v[62:63], v115
	s_waitcnt vmcnt(0) lgkmcnt(2)
	v_mul_f64 v[86:87], v[42:43], v[58:59]
	v_mul_f64 v[58:59], v[84:85], v[58:59]
	v_fma_f64 v[10:11], v[10:11], v[28:29], v[26:27]
	v_fma_f64 v[0:1], v[0:1], v[44:45], v[143:144]
	v_fma_f64 v[28:29], v[135:136], v[28:29], -v[30:31]
	v_fma_f64 v[30:31], v[129:130], v[44:45], -v[46:47]
	v_lshlrev_b32_sdwa v60, v121, v95 dst_sel:DWORD dst_unused:UNUSED_PAD src0_sel:DWORD src1_sel:BYTE_0
	v_fma_f64 v[4:5], v[4:5], v[48:49], v[70:71]
	v_fma_f64 v[12:13], v[12:13], v[48:49], -v[50:51]
	v_lshlrev_b32_sdwa v95, v121, v89 dst_sel:DWORD dst_unused:UNUSED_PAD src0_sel:DWORD src1_sel:WORD_0
	s_waitcnt lgkmcnt(0)
	v_add3_u32 v155, 0, v93, v60
	v_add_f64 v[48:49], v[137:138], -v[74:75]
	v_add_f64 v[44:45], v[74:75], -v[137:138]
	v_fma_f64 v[6:7], v[6:7], v[52:53], v[66:67]
	v_add_f64 v[50:51], v[2:3], -v[16:17]
	v_fma_f64 v[14:15], v[14:15], v[52:53], -v[54:55]
	v_add_f64 v[52:53], v[64:65], -v[36:37]
	v_add_f64 v[54:55], v[32:33], -v[34:35]
	;; [unrolled: 1-line block ×5, first 2 shown]
	v_fma_f64 v[26:27], v[84:85], v[56:57], v[86:87]
	v_fma_f64 v[42:43], v[42:43], v[56:57], -v[58:59]
	v_add_f64 v[56:57], v[36:37], -v[64:65]
	v_add_f64 v[58:59], v[34:35], -v[32:33]
	;; [unrolled: 1-line block ×10, first 2 shown]
	v_add_f64 v[147:148], v[137:138], v[2:3]
	v_add_f64 v[88:89], v[40:41], -v[20:21]
	v_add_f64 v[93:94], v[12:13], -v[24:25]
	v_add_f64 v[48:49], v[48:49], v[50:51]
	v_add_f64 v[50:51], v[36:37], v[34:35]
	;; [unrolled: 1-line block ×7, first 2 shown]
	v_add_f64 v[130:131], v[26:27], -v[6:7]
	v_add_f64 v[134:135], v[6:7], -v[26:27]
	;; [unrolled: 1-line block ×4, first 2 shown]
	v_add_f64 v[56:57], v[56:57], v[58:59]
	v_add_f64 v[58:59], v[38:39], v[4:5]
	v_add3_u32 v95, 0, v152, v95
	v_add_f64 v[60:61], v[60:61], v[66:67]
	v_add_f64 v[66:67], v[8:9], v[18:19]
	;; [unrolled: 1-line block ×6, first 2 shown]
	v_add_f64 v[64:65], v[64:65], -v[32:33]
	v_add_f64 v[88:89], v[88:89], v[93:94]
	v_add_f64 v[93:94], v[40:41], v[12:13]
	v_fma_f64 v[50:51], v[50:51], -0.5, v[62:63]
	v_add_f64 v[74:75], v[74:75], -v[16:17]
	v_lshlrev_b32_sdwa v152, v92, v127 dst_sel:DWORD dst_unused:UNUSED_PAD src0_sel:DWORD src1_sel:BYTE_0
	v_fma_f64 v[54:55], v[54:55], -0.5, v[62:63]
	v_add_f64 v[62:63], v[78:79], v[10:11]
	v_fma_f64 v[46:47], v[46:47], -0.5, v[80:81]
	v_add_f64 v[129:130], v[128:129], v[130:131]
	v_add_f64 v[131:132], v[132:133], v[134:135]
	;; [unrolled: 1-line block ×7, first 2 shown]
	v_fma_f64 v[58:59], v[58:59], -0.5, v[82:83]
	v_fma_f64 v[66:67], v[66:67], -0.5, v[82:83]
	v_add_f64 v[82:83], v[22:23], v[28:29]
	v_fma_f64 v[145:146], v[147:148], -0.5, v[80:81]
	v_add_f64 v[80:81], v[72:73], v[20:21]
	v_add_f64 v[86:87], v[86:87], v[36:37]
	v_add_f64 v[36:37], v[36:37], -v[34:35]
	v_add_f64 v[147:148], v[30:31], v[14:15]
	v_add_f64 v[70:71], v[70:71], v[137:138]
	v_add_f64 v[20:21], v[20:21], -v[24:25]
	v_add_f64 v[137:138], v[137:138], -v[2:3]
	v_fma_f64 v[93:94], v[93:94], -0.5, v[72:73]
	v_add_f64 v[8:9], v[8:9], -v[18:19]
	v_add_f64 v[62:63], v[62:63], v[0:1]
	v_fma_f64 v[72:73], v[149:150], -0.5, v[72:73]
	v_add_f64 v[10:11], v[10:11], -v[26:27]
	v_add_f64 v[0:1], v[0:1], -v[6:7]
	v_fma_f64 v[133:134], v[133:134], -0.5, v[78:79]
	s_barrier
	v_fma_f64 v[78:79], v[139:140], -0.5, v[78:79]
	v_add_f64 v[139:140], v[28:29], v[42:43]
	v_add_f64 v[143:144], v[143:144], v[38:39]
	v_add_f64 v[38:39], v[38:39], -v[4:5]
	v_add_f64 v[28:29], v[28:29], -v[42:43]
	v_add_f64 v[82:83], v[82:83], v[30:31]
	v_add_f64 v[30:31], v[30:31], -v[14:15]
	v_add_f64 v[80:81], v[80:81], v[40:41]
	;; [unrolled: 2-line block ×3, first 2 shown]
	v_fma_f64 v[86:87], v[36:37], s[6:7], v[46:47]
	v_fma_f64 v[46:47], v[36:37], s[4:5], v[46:47]
	v_add_f64 v[2:3], v[70:71], v[2:3]
	v_fma_f64 v[70:71], v[147:148], -0.5, v[22:23]
	buffer_gl0_inv
	v_fma_f64 v[147:148], v[8:9], s[6:7], v[93:94]
	v_add_f64 v[6:7], v[62:63], v[6:7]
	v_fma_f64 v[62:63], v[74:75], s[6:7], v[50:51]
	v_fma_f64 v[50:51], v[74:75], s[4:5], v[50:51]
	v_fma_f64 v[93:94], v[8:9], s[4:5], v[93:94]
	v_sub_nc_u16 v128, v109, v156
	v_fma_f64 v[22:23], v[139:140], -0.5, v[22:23]
	v_fma_f64 v[139:140], v[64:65], s[4:5], v[145:146]
	v_fma_f64 v[145:146], v[64:65], s[6:7], v[145:146]
	v_add_f64 v[4:5], v[143:144], v[4:5]
	v_add_f64 v[14:15], v[82:83], v[14:15]
	v_fma_f64 v[82:83], v[20:21], s[4:5], v[58:59]
	v_fma_f64 v[58:59], v[20:21], s[6:7], v[58:59]
	v_add_f64 v[12:13], v[80:81], v[12:13]
	v_fma_f64 v[80:81], v[137:138], s[4:5], v[54:55]
	v_fma_f64 v[54:55], v[137:138], s[6:7], v[54:55]
	;; [unrolled: 1-line block ×8, first 2 shown]
	v_add_f64 v[2:3], v[2:3], v[16:17]
	v_fma_f64 v[16:17], v[28:29], s[4:5], v[133:134]
	v_add_f64 v[32:33], v[34:35], v[32:33]
	v_fma_f64 v[34:35], v[10:11], s[6:7], v[70:71]
	v_fma_f64 v[62:63], v[137:138], s[14:15], v[62:63]
	;; [unrolled: 1-line block ×11, first 2 shown]
	v_add_f64 v[4:5], v[4:5], v[18:19]
	v_fma_f64 v[18:19], v[40:41], s[10:11], v[82:83]
	v_fma_f64 v[40:41], v[40:41], s[14:15], v[58:59]
	v_fma_f64 v[80:81], v[74:75], s[14:15], v[80:81]
	v_fma_f64 v[54:55], v[74:75], s[10:11], v[54:55]
	v_add_f64 v[24:25], v[12:13], v[24:25]
	v_fma_f64 v[12:13], v[38:39], s[14:15], v[147:148]
	v_fma_f64 v[58:59], v[20:21], s[10:11], v[143:144]
	;; [unrolled: 1-line block ×7, first 2 shown]
	v_add_f64 v[6:7], v[6:7], v[26:27]
	v_fma_f64 v[26:27], v[0:1], s[14:15], v[34:35]
	v_fma_f64 v[34:35], v[10:11], s[14:15], v[137:138]
	;; [unrolled: 1-line block ×24, first 2 shown]
	v_add_f64 v[42:43], v[14:15], v[42:43]
	v_fma_f64 v[26:27], v[135:136], s[16:17], v[26:27]
	v_fma_f64 v[58:59], v[131:132], s[16:17], v[66:67]
	;; [unrolled: 1-line block ×7, first 2 shown]
	ds_write2_b64 v155, v[2:3], v[22:23] offset1:5
	ds_write2_b64 v155, v[44:45], v[46:47] offset0:10 offset1:15
	ds_write_b64 v155, v[36:37] offset:160
	ds_write2_b64 v95, v[4:5], v[18:19] offset1:5
	ds_write2_b64 v95, v[48:49], v[20:21] offset0:10 offset1:15
	ds_write_b64 v95, v[40:41] offset:160
	;; [unrolled: 3-line block ×3, first 2 shown]
	s_waitcnt lgkmcnt(0)
	s_barrier
	buffer_gl0_inv
	ds_read_b64 v[84:85], v115
	ds_read2_b64 v[16:19], v90 offset0:6 offset1:231
	ds_read2_b64 v[0:3], v123 offset0:8 offset1:233
	;; [unrolled: 1-line block ×5, first 2 shown]
	ds_read_b64 v[80:81], v120
	ds_read_b64 v[82:83], v119
	;; [unrolled: 1-line block ×3, first 2 shown]
	ds_read_b64 v[86:87], v115 offset:25200
	s_waitcnt lgkmcnt(0)
	s_barrier
	buffer_gl0_inv
	ds_write2_b64 v155, v[32:33], v[60:61] offset1:5
	ds_write2_b64 v155, v[52:53], v[54:55] offset0:10 offset1:15
	ds_write_b64 v155, v[50:51] offset:160
	ds_write2_b64 v95, v[24:25], v[56:57] offset1:5
	ds_write2_b64 v95, v[62:63], v[64:65] offset0:10 offset1:15
	ds_write_b64 v95, v[38:39] offset:160
	;; [unrolled: 3-line block ×3, first 2 shown]
	s_waitcnt lgkmcnt(0)
	s_barrier
	buffer_gl0_inv
	s_clause 0x1
	global_load_dwordx4 v[48:51], v152, s[8:9] offset:336
	global_load_dwordx4 v[56:59], v152, s[8:9] offset:320
	v_lshrrev_b32_e32 v20, 16, v151
	v_lshlrev_b32_sdwa v154, v92, v128 dst_sel:DWORD dst_unused:UNUSED_PAD src0_sel:DWORD src1_sel:WORD_0
	global_load_dwordx4 v[28:31], v152, s[8:9] offset:368
	v_add_nc_u32_e32 v78, 0xffffff83, v99
	v_mov_b32_e32 v79, 0
	v_sub_nc_u16 v21, v110, v20
	global_load_dwordx4 v[44:47], v154, s[8:9] offset:336
	v_lshrrev_b16 v21, 1, v21
	v_add_nc_u16 v24, v21, v20
	s_clause 0x2
	global_load_dwordx4 v[20:23], v154, s[8:9] offset:368
	global_load_dwordx4 v[52:55], v152, s[8:9] offset:352
	;; [unrolled: 1-line block ×3, first 2 shown]
	v_lshrrev_b16 v129, 4, v24
	v_mul_lo_u16 v24, v129, 25
	v_sub_nc_u16 v130, v110, v24
	v_lshlrev_b32_sdwa v64, v92, v130 dst_sel:DWORD dst_unused:UNUSED_PAD src0_sel:DWORD src1_sel:WORD_0
	s_clause 0x4
	global_load_dwordx4 v[36:39], v154, s[8:9] offset:352
	global_load_dwordx4 v[24:27], v64, s[8:9] offset:320
	;; [unrolled: 1-line block ×5, first 2 shown]
	ds_read2_b64 v[72:75], v90 offset0:6 offset1:231
	ds_read2_b64 v[68:71], v91 offset0:12 offset1:237
	v_lshlrev_b32_sdwa v130, v121, v130 dst_sel:DWORD dst_unused:UNUSED_PAD src0_sel:DWORD src1_sel:WORD_0
	s_waitcnt vmcnt(11) lgkmcnt(1)
	v_mul_f64 v[92:93], v[72:73], v[50:51]
	v_mul_f64 v[94:95], v[16:17], v[50:51]
	ds_read_b64 v[50:51], v116
	ds_read2_b64 v[131:134], v123 offset0:8 offset1:233
	ds_read2_b64 v[135:138], v124 offset0:4 offset1:229
	s_waitcnt vmcnt(9) lgkmcnt(3)
	v_mul_f64 v[123:124], v[68:69], v[30:31]
	v_mul_f64 v[143:144], v[12:13], v[30:31]
	ds_read2_b64 v[139:142], v122 offset0:10 offset1:235
	v_mov_b32_e32 v30, 0x625
	s_waitcnt vmcnt(8)
	v_mul_f64 v[90:91], v[74:75], v[46:47]
	v_mul_f64 v[46:47], v[18:19], v[46:47]
	v_mul_u32_u24_sdwa v31, v109, v30 dst_sel:DWORD dst_unused:UNUSED_PAD src0_sel:WORD_0 src1_sel:DWORD
	s_waitcnt vmcnt(7)
	v_mul_f64 v[145:146], v[70:71], v[22:23]
	v_mul_f64 v[22:23], v[14:15], v[22:23]
	v_fma_f64 v[16:17], v[16:17], v[48:49], v[92:93]
	v_fma_f64 v[48:49], v[72:73], v[48:49], -v[94:95]
	s_waitcnt lgkmcnt(3)
	v_mul_f64 v[94:95], v[50:51], v[58:59]
	v_mul_f64 v[58:59], v[88:89], v[58:59]
	ds_read_b64 v[72:73], v119
	ds_read_b64 v[92:93], v115 offset:25200
	v_fma_f64 v[12:13], v[12:13], v[28:29], v[123:124]
	v_fma_f64 v[28:29], v[68:69], v[28:29], -v[143:144]
	v_lshrrev_b32_e32 v124, 16, v31
	v_fma_f64 v[18:19], v[18:19], v[44:45], v[90:91]
	v_fma_f64 v[44:45], v[74:75], v[44:45], -v[46:47]
	s_waitcnt vmcnt(6) lgkmcnt(4)
	v_mul_f64 v[46:47], v[133:134], v[54:55]
	v_mul_f64 v[54:55], v[2:3], v[54:55]
	s_waitcnt vmcnt(5) lgkmcnt(3)
	v_mul_f64 v[74:75], v[135:136], v[34:35]
	v_mul_f64 v[34:35], v[8:9], v[34:35]
	ds_read_b64 v[122:123], v115
	s_waitcnt vmcnt(4) lgkmcnt(3)
	v_mul_f64 v[68:69], v[139:140], v[38:39]
	s_waitcnt vmcnt(3)
	v_mul_f64 v[143:144], v[137:138], v[26:27]
	v_cndmask_b32_e64 v90, v78, v99, s0
	v_fma_f64 v[14:15], v[14:15], v[20:21], v[145:146]
	v_fma_f64 v[20:21], v[70:71], v[20:21], -v[22:23]
	v_mul_f64 v[22:23], v[10:11], v[26:27]
	v_mul_f64 v[26:27], v[4:5], v[38:39]
	s_waitcnt vmcnt(2)
	v_mul_f64 v[38:39], v[131:132], v[42:43]
	v_mul_f64 v[42:43], v[0:1], v[42:43]
	v_fma_f64 v[88:89], v[88:89], v[56:57], v[94:95]
	v_fma_f64 v[50:51], v[50:51], v[56:57], -v[58:59]
	s_waitcnt vmcnt(1)
	v_mul_f64 v[56:57], v[6:7], v[62:63]
	s_waitcnt vmcnt(0)
	v_mul_f64 v[58:59], v[86:87], v[66:67]
	v_mul_f64 v[70:71], v[141:142], v[62:63]
	s_waitcnt lgkmcnt(1)
	v_mul_f64 v[94:95], v[92:93], v[66:67]
	v_lshlrev_b32_e32 v78, 1, v90
	v_lshlrev_b32_e32 v90, 3, v90
	v_fma_f64 v[2:3], v[2:3], v[52:53], v[46:47]
	v_fma_f64 v[46:47], v[133:134], v[52:53], -v[54:55]
	ds_read_b64 v[54:55], v120
	v_fma_f64 v[8:9], v[8:9], v[32:33], v[74:75]
	v_fma_f64 v[31:32], v[135:136], v[32:33], -v[34:35]
	v_fma_f64 v[4:5], v[4:5], v[36:37], v[68:69]
	v_fma_f64 v[10:11], v[10:11], v[24:25], v[143:144]
	v_lshlrev_b64 v[52:53], 4, v[78:79]
	v_mov_b32_e32 v78, 0x3e8
	s_waitcnt lgkmcnt(0)
	v_fma_f64 v[22:23], v[137:138], v[24:25], -v[22:23]
	v_fma_f64 v[26:27], v[139:140], v[36:37], -v[26:27]
	v_fma_f64 v[0:1], v[0:1], v[40:41], v[38:39]
	v_fma_f64 v[24:25], v[131:132], v[40:41], -v[42:43]
	v_add_f64 v[39:40], v[88:89], -v[16:17]
	v_add_f64 v[153:154], v[88:89], v[12:13]
	v_fma_f64 v[35:36], v[141:142], v[60:61], -v[56:57]
	v_fma_f64 v[37:38], v[92:93], v[64:65], -v[58:59]
	v_fma_f64 v[6:7], v[6:7], v[60:61], v[70:71]
	v_fma_f64 v[33:34], v[86:87], v[64:65], v[94:95]
	v_add_f64 v[56:57], v[16:17], -v[88:89]
	v_add_f64 v[60:61], v[50:51], -v[48:49]
	;; [unrolled: 1-line block ×9, first 2 shown]
	v_add_f64 v[151:152], v[16:17], v[2:3]
	v_add_f64 v[155:156], v[8:9], v[14:15]
	v_add_f64 v[64:65], v[48:49], -v[50:51]
	v_add_f64 v[66:67], v[46:47], -v[28:29]
	v_add_f64 v[93:94], v[20:21], -v[26:27]
	v_add_f64 v[133:134], v[26:27], -v[20:21]
	v_add_f64 v[143:144], v[22:23], -v[24:25]
	v_add_f64 v[147:148], v[24:25], -v[22:23]
	v_add_f64 v[135:136], v[10:11], -v[0:1]
	v_add_f64 v[139:140], v[0:1], -v[10:11]
	v_add_f64 v[145:146], v[37:38], -v[35:36]
	v_add_f64 v[149:150], v[35:36], -v[37:38]
	v_add_f64 v[137:138], v[33:34], -v[6:7]
	v_add_f64 v[141:142], v[6:7], -v[33:34]
	v_sub_nc_u16 v43, v109, v124
	v_add_f64 v[39:40], v[39:40], v[41:42]
	v_add_f64 v[41:42], v[48:49], v[46:47]
	;; [unrolled: 1-line block ×8, first 2 shown]
	v_fma_f64 v[151:152], v[151:152], -0.5, v[84:85]
	v_fma_f64 v[84:85], v[153:154], -0.5, v[84:85]
	;; [unrolled: 1-line block ×3, first 2 shown]
	v_add_f64 v[91:92], v[91:92], v[93:94]
	v_add_f64 v[93:94], v[31:32], v[20:21]
	;; [unrolled: 1-line block ×15, first 2 shown]
	v_fma_f64 v[41:42], v[41:42], -0.5, v[122:123]
	v_fma_f64 v[62:63], v[62:63], -0.5, v[122:123]
	v_add_f64 v[122:123], v[82:83], v[8:9]
	v_add_f64 v[66:67], v[18:19], v[4:5]
	v_fma_f64 v[157:158], v[74:75], -0.5, v[72:73]
	v_add_f64 v[16:17], v[16:17], -v[2:3]
	v_add_f64 v[50:51], v[50:51], -v[28:29]
	v_lshrrev_b16 v43, 1, v43
	v_fma_f64 v[93:94], v[93:94], -0.5, v[72:73]
	v_add_f64 v[88:89], v[88:89], -v[12:13]
	v_add_f64 v[73:74], v[133:134], v[48:49]
	v_add_f64 v[48:49], v[48:49], -v[46:47]
	v_add_nc_u16 v43, v43, v124
	v_add_f64 v[31:32], v[31:32], -v[20:21]
	v_fma_f64 v[145:146], v[145:146], -0.5, v[54:55]
	v_add_f64 v[68:69], v[8:9], -v[18:19]
	v_fma_f64 v[149:150], v[149:150], -0.5, v[54:55]
	v_add_f64 v[54:55], v[54:55], v[22:23]
	v_fma_f64 v[133:134], v[137:138], -0.5, v[80:81]
	v_add_f64 v[70:71], v[14:15], -v[4:5]
	v_fma_f64 v[137:138], v[141:142], -0.5, v[80:81]
	v_add_f64 v[141:142], v[80:81], v[10:11]
	v_add_f64 v[2:3], v[58:59], v[2:3]
	v_mul_u32_u24_sdwa v80, v125, v78 dst_sel:DWORD dst_unused:UNUSED_PAD src0_sel:WORD_0 src1_sel:DWORD
	v_add_f64 v[58:59], v[122:123], v[18:19]
	v_add_f64 v[122:123], v[155:156], v[44:45]
	v_fma_f64 v[66:67], v[66:67], -0.5, v[82:83]
	v_mul_u32_u24_sdwa v83, v110, v30 dst_sel:DWORD dst_unused:UNUSED_PAD src0_sel:WORD_0 src1_sel:DWORD
	v_lshrrev_b16 v81, 6, v43
	v_mul_u32_u24_sdwa v156, v126, v78 dst_sel:DWORD dst_unused:UNUSED_PAD src0_sel:WORD_0 src1_sel:DWORD
	v_add_f64 v[18:19], v[18:19], -v[4:5]
	v_add_f64 v[8:9], v[8:9], -v[14:15]
	v_lshrrev_b32_e32 v95, 16, v83
	v_lshlrev_b32_sdwa v83, v121, v127 dst_sel:DWORD dst_unused:UNUSED_PAD src0_sel:DWORD src1_sel:BYTE_0
	v_mul_lo_u16 v43, 0x7d, v81
	v_add_f64 v[46:47], v[73:74], v[46:47]
	v_add_f64 v[22:23], v[22:23], -v[37:38]
	v_sub_nc_u16 v127, v110, v95
	v_add3_u32 v155, 0, v80, v83
	v_add_f64 v[54:55], v[54:55], v[24:25]
	v_sub_nc_u16 v80, v109, v43
	v_add_f64 v[43:44], v[44:45], -v[26:27]
	v_lshrrev_b16 v159, 1, v127
	v_add_f64 v[124:125], v[141:142], v[0:1]
	v_fma_f64 v[126:127], v[50:51], s[6:7], v[151:152]
	v_add_f64 v[24:25], v[24:25], -v[35:36]
	v_add_f64 v[4:5], v[58:59], v[4:5]
	v_fma_f64 v[58:59], v[50:51], s[4:5], v[151:152]
	v_add_f64 v[26:27], v[122:123], v[26:27]
	v_fma_f64 v[122:123], v[48:49], s[6:7], v[84:85]
	v_fma_f64 v[83:84], v[48:49], s[4:5], v[84:85]
	v_add_f64 v[10:11], v[10:11], -v[33:34]
	v_add_f64 v[0:1], v[0:1], -v[6:7]
	v_add_f64 v[2:3], v[2:3], v[12:13]
	v_fma_f64 v[12:13], v[31:32], s[4:5], v[66:67]
	v_fma_f64 v[66:67], v[31:32], s[6:7], v[66:67]
	v_mul_u32_u24_sdwa v78, v129, v78 dst_sel:DWORD dst_unused:UNUSED_PAD src0_sel:WORD_0 src1_sel:DWORD
	v_lshlrev_b32_sdwa v85, v121, v128 dst_sel:DWORD dst_unused:UNUSED_PAD src0_sel:DWORD src1_sel:WORD_0
	v_fma_f64 v[141:142], v[8:9], s[4:5], v[157:158]
	v_add_f64 v[28:29], v[46:47], v[28:29]
	v_fma_f64 v[45:46], v[22:23], s[4:5], v[133:134]
	v_add_f64 v[35:36], v[54:55], v[35:36]
	v_fma_f64 v[54:55], v[16:17], s[4:5], v[62:63]
	v_fma_f64 v[62:63], v[16:17], s[6:7], v[62:63]
	;; [unrolled: 1-line block ×3, first 2 shown]
	v_add_f64 v[6:7], v[124:125], v[6:7]
	v_fma_f64 v[124:125], v[88:89], s[6:7], v[41:42]
	v_fma_f64 v[41:42], v[88:89], s[4:5], v[41:42]
	v_add_f64 v[4:5], v[4:5], v[14:15]
	v_fma_f64 v[58:59], v[48:49], s[10:11], v[58:59]
	v_fma_f64 v[48:49], v[48:49], s[14:15], v[126:127]
	;; [unrolled: 1-line block ×13, first 2 shown]
	v_add_f64 v[68:69], v[68:69], v[70:71]
	v_add_f64 v[20:21], v[26:27], v[20:21]
	v_fma_f64 v[54:55], v[88:89], s[14:15], v[54:55]
	v_fma_f64 v[62:63], v[88:89], s[10:11], v[62:63]
	;; [unrolled: 1-line block ×11, first 2 shown]
	v_add_f64 v[6:7], v[6:7], v[33:34]
	v_fma_f64 v[26:27], v[18:19], s[14:15], v[83:84]
	v_fma_f64 v[18:19], v[18:19], s[10:11], v[141:142]
	;; [unrolled: 1-line block ×8, first 2 shown]
	v_add_f64 v[35:36], v[35:36], v[37:38]
	v_fma_f64 v[39:40], v[39:40], s[16:17], v[48:49]
	v_fma_f64 v[47:48], v[56:57], s[16:17], v[122:123]
	;; [unrolled: 1-line block ×9, first 2 shown]
	v_add3_u32 v151, 0, v156, v85
	v_fma_f64 v[56:57], v[86:87], s[16:17], v[126:127]
	v_fma_f64 v[31:32], v[86:87], s[16:17], v[31:32]
	;; [unrolled: 1-line block ×14, first 2 shown]
	v_add_nc_u32_e32 v72, 0x2300, v115
	v_fma_f64 v[83:84], v[131:132], s[16:17], v[83:84]
	v_fma_f64 v[93:94], v[131:132], s[16:17], v[8:9]
	v_add_nc_u32_e32 v75, 0x3f00, v115
	v_add_nc_u32_e32 v71, 0x4d00, v115
	v_fma_f64 v[41:42], v[139:140], s[16:17], v[41:42]
	v_fma_f64 v[22:23], v[139:140], s[16:17], v[22:23]
	v_add_nc_u32_e32 v73, 0x3100, v115
	v_lshl_add_u32 v70, v112, 3, 0
	v_add_nc_u32_e32 v74, 0x5b00, v115
	v_add3_u32 v78, 0, v78, v130
	s_barrier
	buffer_gl0_inv
	ds_write2_b64 v155, v[2:3], v[58:59] offset1:25
	ds_write2_b64 v155, v[47:48], v[49:50] offset0:50 offset1:75
	ds_write_b64 v155, v[39:40] offset:800
	ds_write2_b64 v151, v[4:5], v[12:13] offset1:25
	ds_write2_b64 v151, v[56:57], v[31:32] offset0:50 offset1:75
	ds_write_b64 v151, v[43:44] offset:800
	;; [unrolled: 3-line block ×3, first 2 shown]
	s_waitcnt lgkmcnt(0)
	s_barrier
	buffer_gl0_inv
	ds_read2_b64 v[16:19], v72 offset0:5 offset1:230
	ds_read2_b64 v[0:3], v75 offset0:9 offset1:234
	;; [unrolled: 1-line block ×3, first 2 shown]
	ds_read_b64 v[62:63], v120
	ds_read2_b64 v[8:11], v73 offset0:7 offset1:232
	ds_read_b64 v[66:67], v115
	ds_read_b64 v[64:65], v116
	ds_read2_b64 v[4:7], v74 offset0:13 offset1:238
	ds_read_b64 v[68:69], v119
	ds_read_b64 v[60:61], v70
	s_waitcnt lgkmcnt(0)
	s_barrier
	buffer_gl0_inv
	ds_write2_b64 v155, v[28:29], v[37:38] offset1:25
	ds_write2_b64 v155, v[54:55], v[87:88] offset0:50 offset1:75
	ds_write_b64 v155, v[85:86] offset:800
	ds_write2_b64 v151, v[20:21], v[26:27] offset1:25
	ds_write2_b64 v151, v[83:84], v[93:94] offset0:50 offset1:75
	ds_write_b64 v151, v[91:92] offset:800
	ds_write2_b64 v78, v[35:36], v[122:123] offset1:25
	ds_write2_b64 v78, v[33:34], v[126:127] offset0:50 offset1:75
	ds_write_b64 v78, v[124:125] offset:800
	v_add_nc_u16 v28, v159, v95
	v_mul_u32_u24_sdwa v29, v111, v30 dst_sel:DWORD dst_unused:UNUSED_PAD src0_sel:WORD_0 src1_sel:DWORD
	v_mov_b32_e32 v82, 5
	v_add_co_u32 v52, s0, s8, v52
	v_lshrrev_b16 v85, 6, v28
	v_lshrrev_b32_e32 v28, 16, v29
	v_add_co_ci_u32_e64 v53, s0, s9, v53, s0
	v_lshlrev_b32_sdwa v152, v82, v80 dst_sel:DWORD dst_unused:UNUSED_PAD src0_sel:DWORD src1_sel:WORD_0
	v_mul_lo_u16 v29, 0x7d, v85
	v_sub_nc_u16 v31, v111, v28
	v_mul_u32_u24_sdwa v30, v112, v30 dst_sel:DWORD dst_unused:UNUSED_PAD src0_sel:WORD_0 src1_sel:DWORD
	s_waitcnt lgkmcnt(0)
	s_barrier
	v_sub_nc_u16 v86, v110, v29
	v_lshrrev_b16 v29, 1, v31
	buffer_gl0_inv
	s_clause 0x2
	global_load_dwordx4 v[20:23], v[52:53], off offset:1920
	global_load_dwordx4 v[40:43], v152, s[8:9] offset:1936
	global_load_dwordx4 v[24:27], v152, s[8:9] offset:1920
	v_lshrrev_b32_e32 v30, 16, v30
	v_add_nc_u16 v28, v29, v28
	v_lshlrev_b32_sdwa v31, v82, v86 dst_sel:DWORD dst_unused:UNUSED_PAD src0_sel:DWORD src1_sel:WORD_0
	v_cmp_lt_u32_e64 s0, 0x7c, v99
	v_add_nc_u32_e32 v78, 0xffffff6a, v99
	v_sub_nc_u16 v29, v112, v30
	v_lshrrev_b16 v89, 6, v28
	global_load_dwordx4 v[44:47], v31, s[8:9] offset:1936
	v_mov_b32_e32 v83, 0x5d87
	v_cndmask_b32_e64 v94, 0, 0xbb8, s0
	v_lshrrev_b16 v28, 1, v29
	v_mul_lo_u16 v29, 0x7d, v89
	v_cmp_gt_u32_e64 s0, 0x96, v99
	v_mul_u32_u24_sdwa v95, v111, v83 dst_sel:DWORD dst_unused:UNUSED_PAD src0_sel:WORD_0 src1_sel:DWORD
	v_mul_u32_u24_sdwa v83, v112, v83 dst_sel:DWORD dst_unused:UNUSED_PAD src0_sel:WORD_0 src1_sel:DWORD
	v_add_nc_u16 v28, v28, v30
	v_sub_nc_u16 v87, v111, v29
	v_cndmask_b32_e64 v92, v78, v109, s0
	v_mov_b32_e32 v84, v79
	v_lshrrev_b32_e32 v127, 16, v83
	v_lshrrev_b16 v91, 6, v28
	v_lshlrev_b32_sdwa v48, v82, v87 dst_sel:DWORD dst_unused:UNUSED_PAD src0_sel:DWORD src1_sel:WORD_0
	s_clause 0x1
	global_load_dwordx4 v[28:31], v31, s[8:9] offset:1920
	global_load_dwordx4 v[32:35], v48, s[8:9] offset:1920
	v_mul_lo_u16 v36, 0x7d, v91
	v_lshlrev_b32_e32 v83, 1, v92
	v_lshlrev_b32_e32 v78, 1, v99
	v_lshrrev_b32_e32 v126, 16, v95
	v_add3_u32 v148, 0, v94, v90
	v_sub_nc_u16 v88, v112, v36
	global_load_dwordx4 v[36:39], v[52:53], off offset:1936
	v_lshlrev_b64 v[83:84], 4, v[83:84]
	v_lshlrev_b64 v[94:95], 4, v[78:79]
	v_sub_nc_u16 v90, v111, v126
	v_lshlrev_b32_sdwa v56, v82, v88 dst_sel:DWORD dst_unused:UNUSED_PAD src0_sel:DWORD src1_sel:WORD_0
	s_clause 0x2
	global_load_dwordx4 v[48:51], v48, s[8:9] offset:1936
	global_load_dwordx4 v[52:55], v56, s[8:9] offset:1920
	;; [unrolled: 1-line block ×3, first 2 shown]
	v_sub_nc_u16 v122, v112, v127
	v_add_co_u32 v129, s0, s8, v83
	v_add_co_ci_u32_e64 v132, s0, s9, v84, s0
	v_add_co_u32 v83, s0, s8, v94
	v_add_nc_u32_e32 v78, 0x96, v78
	v_lshrrev_b16 v90, 1, v90
	v_lshrrev_b16 v128, 1, v122
	ds_read2_b64 v[122:125], v72 offset0:5 offset1:230
	v_add_co_ci_u32_e64 v84, s0, s9, v95, s0
	v_add_co_u32 v94, s0, 0x1000, v129
	v_add_co_ci_u32_e64 v95, s0, 0, v132, s0
	v_lshlrev_b64 v[130:131], 4, v[78:79]
	v_add_nc_u16 v78, v90, v126
	v_add_nc_u16 v90, v128, v127
	v_add_co_u32 v134, s0, 0x1720, v129
	ds_read2_b64 v[126:129], v71 offset0:11 offset1:236
	v_mov_b32_e32 v93, 0xbb8
	v_lshrrev_b16 v90, 8, v90
	v_add_co_ci_u32_e64 v135, s0, 0, v132, s0
	v_add_co_u32 v140, s0, 0x1000, v83
	v_add_co_ci_u32_e64 v141, s0, 0, v84, s0
	v_add_co_u32 v144, s0, s8, v130
	v_mul_u32_u24_sdwa v150, v85, v93 dst_sel:DWORD dst_unused:UNUSED_PAD src0_sel:WORD_0 src1_sel:DWORD
	v_mul_u32_u24_sdwa v151, v89, v93 dst_sel:DWORD dst_unused:UNUSED_PAD src0_sel:WORD_0 src1_sel:DWORD
	v_mul_lo_u16 v85, 0x177, v90
	v_add_co_ci_u32_e64 v145, s0, s9, v131, s0
	ds_read2_b64 v[130:133], v73 offset0:7 offset1:232
	v_lshrrev_b16 v78, 8, v78
	v_mul_u32_u24_sdwa v149, v81, v93 dst_sel:DWORD dst_unused:UNUSED_PAD src0_sel:WORD_0 src1_sel:DWORD
	v_sub_nc_u16 v85, v112, v85
	v_mul_u32_u24_sdwa v91, v91, v93 dst_sel:DWORD dst_unused:UNUSED_PAD src0_sel:WORD_0 src1_sel:DWORD
	v_lshlrev_b32_sdwa v93, v121, v87 dst_sel:DWORD dst_unused:UNUSED_PAD src0_sel:DWORD src1_sel:WORD_0
	v_mul_lo_u16 v81, 0x177, v78
	s_mov_b32 s4, 0xe8584caa
	s_mov_b32 s5, 0xbfebb67a
	s_mov_b32 s7, 0x3febb67a
	s_mov_b32 s6, s4
	v_sub_nc_u16 v152, v111, v81
	v_add3_u32 v93, 0, v151, v93
	v_lshlrev_b32_sdwa v82, v82, v152 dst_sel:DWORD dst_unused:UNUSED_PAD src0_sel:DWORD src1_sel:WORD_0
	s_waitcnt vmcnt(9) lgkmcnt(2)
	v_mul_f64 v[136:137], v[122:123], v[22:23]
	v_mul_f64 v[22:23], v[16:17], v[22:23]
	s_waitcnt vmcnt(7)
	v_mul_f64 v[138:139], v[124:125], v[26:27]
	v_mul_f64 v[26:27], v[18:19], v[26:27]
	s_waitcnt lgkmcnt(1)
	v_mul_f64 v[89:90], v[126:127], v[42:43]
	v_mul_f64 v[42:43], v[12:13], v[42:43]
	s_waitcnt vmcnt(6)
	v_mul_f64 v[142:143], v[128:129], v[46:47]
	v_mul_f64 v[46:47], v[14:15], v[46:47]
	v_fma_f64 v[136:137], v[16:17], v[20:21], v[136:137]
	v_fma_f64 v[122:123], v[122:123], v[20:21], -v[22:23]
	ds_read2_b64 v[20:23], v75 offset0:9 offset1:234
	v_fma_f64 v[138:139], v[18:19], v[24:25], v[138:139]
	ds_read2_b64 v[16:19], v74 offset0:13 offset1:238
	v_fma_f64 v[24:25], v[124:125], v[24:25], -v[26:27]
	v_fma_f64 v[12:13], v[12:13], v[40:41], v[89:90]
	v_fma_f64 v[26:27], v[126:127], v[40:41], -v[42:43]
	s_waitcnt vmcnt(5) lgkmcnt(2)
	v_mul_f64 v[40:41], v[130:131], v[30:31]
	s_waitcnt vmcnt(4)
	v_mul_f64 v[42:43], v[132:133], v[34:35]
	v_lshlrev_b32_sdwa v89, v121, v80 dst_sel:DWORD dst_unused:UNUSED_PAD src0_sel:DWORD src1_sel:WORD_0
	v_fma_f64 v[14:15], v[14:15], v[44:45], v[142:143]
	v_lshlrev_b32_sdwa v90, v121, v86 dst_sel:DWORD dst_unused:UNUSED_PAD src0_sel:DWORD src1_sel:WORD_0
	v_fma_f64 v[44:45], v[128:129], v[44:45], -v[46:47]
	v_lshlrev_b32_sdwa v126, v121, v88 dst_sel:DWORD dst_unused:UNUSED_PAD src0_sel:DWORD src1_sel:WORD_0
	v_and_b32_e32 v142, 0xffff, v85
	v_mul_f64 v[30:31], v[8:9], v[30:31]
	v_mul_f64 v[34:35], v[10:11], v[34:35]
	v_add3_u32 v143, 0, v149, v89
	v_add3_u32 v91, 0, v91, v126
	;; [unrolled: 1-line block ×3, first 2 shown]
	v_add_co_u32 v124, s0, 0x1720, v144
	s_waitcnt vmcnt(3) lgkmcnt(1)
	v_mul_f64 v[80:81], v[22:23], v[38:39]
	v_mul_f64 v[38:39], v[2:3], v[38:39]
	s_waitcnt vmcnt(2) lgkmcnt(0)
	v_mul_f64 v[46:47], v[16:17], v[50:51]
	s_waitcnt vmcnt(1)
	v_mul_f64 v[85:86], v[20:21], v[54:55]
	s_waitcnt vmcnt(0)
	v_mul_f64 v[87:88], v[18:19], v[58:59]
	v_mul_f64 v[54:55], v[0:1], v[54:55]
	v_add_f64 v[128:129], v[138:139], -v[12:13]
	v_fma_f64 v[8:9], v[8:9], v[28:29], v[40:41]
	v_mul_f64 v[40:41], v[4:5], v[50:51]
	v_fma_f64 v[10:11], v[10:11], v[32:33], v[42:43]
	v_mul_f64 v[42:43], v[6:7], v[58:59]
	v_add_co_ci_u32_e64 v125, s0, 0, v145, s0
	v_add_co_u32 v144, s0, 0x1000, v144
	v_fma_f64 v[28:29], v[130:131], v[28:29], -v[30:31]
	v_fma_f64 v[30:31], v[132:133], v[32:33], -v[34:35]
	v_add_f64 v[34:35], v[138:139], v[12:13]
	v_add_co_ci_u32_e64 v145, s0, 0, v145, s0
	v_add_co_u32 v146, s0, 0x1720, v83
	v_fma_f64 v[2:3], v[2:3], v[36:37], v[80:81]
	v_fma_f64 v[22:23], v[22:23], v[36:37], -v[38:39]
	v_fma_f64 v[4:5], v[4:5], v[48:49], v[46:47]
	v_fma_f64 v[0:1], v[0:1], v[52:53], v[85:86]
	;; [unrolled: 1-line block ×3, first 2 shown]
	ds_read_b64 v[36:37], v115
	ds_read_b64 v[38:39], v119
	;; [unrolled: 1-line block ×3, first 2 shown]
	v_fma_f64 v[20:21], v[20:21], v[52:53], -v[54:55]
	v_fma_f64 v[16:17], v[16:17], v[48:49], -v[40:41]
	v_add_f64 v[48:49], v[8:9], v[14:15]
	v_fma_f64 v[18:19], v[18:19], v[56:57], -v[42:43]
	v_add_f64 v[85:86], v[24:25], v[26:27]
	v_add_f64 v[40:41], v[66:67], v[136:137]
	;; [unrolled: 1-line block ×3, first 2 shown]
	ds_read_b64 v[50:51], v116
	ds_read_b64 v[58:59], v70
	v_add_f64 v[132:133], v[28:29], v[44:45]
	v_add_f64 v[89:90], v[62:63], v[8:9]
	v_fma_f64 v[34:35], v[34:35], -0.5, v[68:69]
	v_add_f64 v[8:9], v[8:9], -v[14:15]
	s_waitcnt lgkmcnt(0)
	s_barrier
	buffer_gl0_inv
	v_add_f64 v[32:33], v[136:137], v[2:3]
	v_add_f64 v[52:53], v[122:123], v[22:23]
	;; [unrolled: 1-line block ×6, first 2 shown]
	v_add_f64 v[87:88], v[136:137], -v[2:3]
	v_add_f64 v[122:123], v[122:123], -v[22:23]
	v_add_f64 v[138:139], v[30:31], v[16:17]
	v_add_f64 v[136:137], v[64:65], v[10:11]
	;; [unrolled: 1-line block ×4, first 2 shown]
	v_add_f64 v[24:25], v[24:25], -v[26:27]
	v_add_f64 v[28:29], v[28:29], -v[44:45]
	v_fma_f64 v[48:49], v[48:49], -0.5, v[62:63]
	v_add_f64 v[62:63], v[30:31], -v[16:17]
	v_fma_f64 v[38:39], v[85:86], -0.5, v[38:39]
	v_add_f64 v[2:3], v[40:41], v[2:3]
	v_fma_f64 v[40:41], v[132:133], -0.5, v[46:47]
	v_add_f64 v[30:31], v[50:51], v[30:31]
	v_add_f64 v[10:11], v[10:11], -v[4:5]
	v_add_f64 v[12:13], v[56:57], v[12:13]
	v_fma_f64 v[32:33], v[32:33], -0.5, v[66:67]
	v_add_f64 v[66:67], v[60:61], v[0:1]
	v_fma_f64 v[54:55], v[54:55], -0.5, v[64:65]
	v_add_f64 v[64:65], v[20:21], -v[18:19]
	v_fma_f64 v[60:61], v[126:127], -0.5, v[60:61]
	v_fma_f64 v[36:37], v[52:53], -0.5, v[36:37]
	v_add_f64 v[22:23], v[42:43], v[22:23]
	v_add_f64 v[42:43], v[130:131], v[44:45]
	v_fma_f64 v[44:45], v[138:139], -0.5, v[50:51]
	v_add_f64 v[20:21], v[58:59], v[20:21]
	v_add_f64 v[0:1], v[0:1], -v[6:7]
	v_fma_f64 v[46:47], v[68:69], -0.5, v[58:59]
	v_add_f64 v[26:27], v[80:81], v[26:27]
	v_fma_f64 v[52:53], v[24:25], s[4:5], v[34:35]
	v_fma_f64 v[24:25], v[24:25], s[6:7], v[34:35]
	;; [unrolled: 1-line block ×4, first 2 shown]
	v_add_f64 v[14:15], v[89:90], v[14:15]
	v_add_f64 v[4:5], v[136:137], v[4:5]
	;; [unrolled: 1-line block ×3, first 2 shown]
	v_add_co_ci_u32_e64 v147, s0, 0, v84, s0
	v_fma_f64 v[50:51], v[122:123], s[4:5], v[32:33]
	v_fma_f64 v[32:33], v[122:123], s[6:7], v[32:33]
	v_fma_f64 v[48:49], v[62:63], s[4:5], v[54:55]
	v_fma_f64 v[54:55], v[62:63], s[6:7], v[54:55]
	v_fma_f64 v[56:57], v[64:65], s[4:5], v[60:61]
	v_fma_f64 v[58:59], v[64:65], s[6:7], v[60:61]
	v_fma_f64 v[60:61], v[87:88], s[6:7], v[36:37]
	v_fma_f64 v[36:37], v[87:88], s[4:5], v[36:37]
	v_fma_f64 v[62:63], v[128:129], s[6:7], v[38:39]
	v_fma_f64 v[38:39], v[128:129], s[4:5], v[38:39]
	v_fma_f64 v[64:65], v[8:9], s[6:7], v[40:41]
	v_fma_f64 v[40:41], v[8:9], s[4:5], v[40:41]
	v_add_f64 v[6:7], v[66:67], v[6:7]
	v_fma_f64 v[66:67], v[10:11], s[6:7], v[44:45]
	v_fma_f64 v[44:45], v[10:11], s[4:5], v[44:45]
	v_add_f64 v[20:21], v[20:21], v[18:19]
	v_fma_f64 v[68:69], v[0:1], s[6:7], v[46:47]
	v_fma_f64 v[46:47], v[0:1], s[4:5], v[46:47]
	ds_write2_b64 v148, v[2:3], v[50:51] offset1:125
	ds_write_b64 v148, v[32:33] offset:2000
	ds_write2_b64 v143, v[12:13], v[52:53] offset1:125
	ds_write_b64 v143, v[24:25] offset:2000
	;; [unrolled: 2-line block ×5, first 2 shown]
	s_waitcnt lgkmcnt(0)
	s_barrier
	buffer_gl0_inv
	ds_read2_b64 v[0:3], v72 offset0:5 offset1:230
	ds_read2_b64 v[4:7], v75 offset0:9 offset1:234
	;; [unrolled: 1-line block ×3, first 2 shown]
	ds_read_b64 v[80:81], v120
	ds_read2_b64 v[12:15], v73 offset0:7 offset1:232
	ds_read_b64 v[126:127], v115
	ds_read_b64 v[128:129], v116
	ds_read2_b64 v[16:19], v74 offset0:13 offset1:238
	ds_read_b64 v[130:131], v119
	ds_read_b64 v[132:133], v70
	s_waitcnt lgkmcnt(0)
	s_barrier
	buffer_gl0_inv
	ds_write2_b64 v148, v[22:23], v[60:61] offset1:125
	ds_write_b64 v148, v[36:37] offset:2000
	ds_write2_b64 v143, v[26:27], v[62:63] offset1:125
	ds_write_b64 v143, v[38:39] offset:2000
	;; [unrolled: 2-line block ×5, first 2 shown]
	s_waitcnt lgkmcnt(0)
	s_barrier
	buffer_gl0_inv
	global_load_dwordx4 v[20:23], v[140:141], off offset:1824
	v_add_co_u32 v82, s0, s8, v82
	s_clause 0x1
	global_load_dwordx4 v[24:27], v[94:95], off offset:1824
	global_load_dwordx4 v[28:31], v[134:135], off offset:16
	v_add_co_ci_u32_e64 v151, null, s9, 0, s0
	v_lshlrev_b32_e32 v150, 5, v142
	v_add_co_u32 v44, s0, 0x1000, v82
	v_add_co_ci_u32_e64 v45, s0, 0, v151, s0
	v_add_co_u32 v46, s0, s8, v150
	v_add_co_ci_u32_e64 v47, null, s9, 0, s0
	v_add_co_u32 v52, s0, 0x1720, v82
	s_clause 0x2
	global_load_dwordx4 v[32:35], v[124:125], off offset:16
	global_load_dwordx4 v[36:39], v[144:145], off offset:1824
	;; [unrolled: 1-line block ×3, first 2 shown]
	v_add_co_ci_u32_e64 v53, s0, 0, v151, s0
	v_add_co_u32 v48, s0, 0x1000, v46
	v_add_co_ci_u32_e64 v49, s0, 0, v47, s0
	v_add_co_u32 v56, s0, 0x1720, v46
	v_add_co_ci_u32_e64 v57, s0, 0, v47, s0
	s_clause 0x3
	global_load_dwordx4 v[44:47], v[44:45], off offset:1824
	global_load_dwordx4 v[48:51], v[48:49], off offset:1824
	;; [unrolled: 1-line block ×4, first 2 shown]
	ds_read2_b64 v[60:63], v72 offset0:5 offset1:230
	ds_read2_b64 v[64:67], v71 offset0:11 offset1:236
	ds_read2_b64 v[85:88], v75 offset0:9 offset1:234
	ds_read2_b64 v[122:125], v73 offset0:7 offset1:232
	v_lshlrev_b32_e32 v95, 3, v92
	ds_read2_b64 v[89:92], v74 offset0:13 offset1:238
	v_mov_b32_e32 v134, 0x2328
	v_cmp_lt_u32_e64 s0, 0x95, v99
	v_lshl_add_u32 v143, v99, 3, 0
	v_mul_u32_u24_sdwa v78, v78, v134 dst_sel:DWORD dst_unused:UNUSED_PAD src0_sel:WORD_0 src1_sel:DWORD
	v_cndmask_b32_e64 v82, 0, 0x2328, s0
	v_add3_u32 v82, 0, v82, v95
	v_lshlrev_b32_sdwa v95, v121, v152 dst_sel:DWORD dst_unused:UNUSED_PAD src0_sel:DWORD src1_sel:WORD_0
	v_add3_u32 v78, 0, v78, v95
	v_lshl_add_u32 v95, v142, 3, 0
	s_waitcnt vmcnt(9) lgkmcnt(4)
	v_mul_f64 v[68:69], v[60:61], v[22:23]
	v_mul_f64 v[22:23], v[0:1], v[22:23]
	s_waitcnt vmcnt(8)
	v_mul_f64 v[93:94], v[62:63], v[26:27]
	v_mul_f64 v[26:27], v[2:3], v[26:27]
	s_waitcnt vmcnt(7) lgkmcnt(3)
	v_mul_f64 v[134:135], v[64:65], v[30:31]
	v_mul_f64 v[30:31], v[8:9], v[30:31]
	s_waitcnt vmcnt(6)
	v_mul_f64 v[136:137], v[66:67], v[34:35]
	s_waitcnt vmcnt(5) lgkmcnt(1)
	v_mul_f64 v[140:141], v[122:123], v[38:39]
	s_waitcnt vmcnt(4)
	v_mul_f64 v[138:139], v[87:88], v[42:43]
	v_mul_f64 v[42:43], v[6:7], v[42:43]
	;; [unrolled: 1-line block ×3, first 2 shown]
	v_fma_f64 v[0:1], v[0:1], v[20:21], v[68:69]
	v_fma_f64 v[20:21], v[60:61], v[20:21], -v[22:23]
	v_mul_f64 v[22:23], v[12:13], v[38:39]
	v_fma_f64 v[2:3], v[2:3], v[24:25], v[93:94]
	s_waitcnt vmcnt(3)
	v_mul_f64 v[38:39], v[124:125], v[46:47]
	s_waitcnt vmcnt(2)
	v_mul_f64 v[60:61], v[85:86], v[50:51]
	s_waitcnt vmcnt(1) lgkmcnt(0)
	v_mul_f64 v[68:69], v[89:90], v[54:55]
	v_fma_f64 v[24:25], v[62:63], v[24:25], -v[26:27]
	s_waitcnt vmcnt(0)
	v_mul_f64 v[26:27], v[91:92], v[58:59]
	v_mul_f64 v[46:47], v[14:15], v[46:47]
	;; [unrolled: 1-line block ×4, first 2 shown]
	v_fma_f64 v[8:9], v[8:9], v[28:29], v[134:135]
	v_fma_f64 v[28:29], v[64:65], v[28:29], -v[30:31]
	v_mul_f64 v[30:31], v[18:19], v[58:59]
	v_fma_f64 v[10:11], v[10:11], v[32:33], v[136:137]
	v_fma_f64 v[12:13], v[12:13], v[36:37], v[140:141]
	;; [unrolled: 1-line block ×3, first 2 shown]
	v_fma_f64 v[40:41], v[87:88], v[40:41], -v[42:43]
	ds_read_b64 v[42:43], v115
	ds_read_b64 v[58:59], v116
	;; [unrolled: 1-line block ×5, first 2 shown]
	v_fma_f64 v[32:33], v[66:67], v[32:33], -v[34:35]
	s_waitcnt lgkmcnt(0)
	s_barrier
	v_fma_f64 v[22:23], v[122:123], v[36:37], -v[22:23]
	buffer_gl0_inv
	v_fma_f64 v[14:15], v[14:15], v[44:45], v[38:39]
	v_fma_f64 v[4:5], v[4:5], v[48:49], v[60:61]
	;; [unrolled: 1-line block ×3, first 2 shown]
	v_add_f64 v[38:39], v[126:127], v[0:1]
	v_fma_f64 v[18:19], v[18:19], v[56:57], v[26:27]
	v_fma_f64 v[26:27], v[124:125], v[44:45], -v[46:47]
	v_fma_f64 v[34:35], v[85:86], v[48:49], -v[50:51]
	;; [unrolled: 1-line block ×3, first 2 shown]
	v_add_f64 v[48:49], v[2:3], v[8:9]
	v_add_f64 v[54:55], v[130:131], v[2:3]
	v_fma_f64 v[30:31], v[91:92], v[56:57], -v[30:31]
	v_add_f64 v[50:51], v[42:43], v[20:21]
	v_add_f64 v[60:61], v[24:25], v[28:29]
	;; [unrolled: 1-line block ×6, first 2 shown]
	v_add_f64 v[20:21], v[20:21], -v[40:41]
	v_add_f64 v[24:25], v[24:25], -v[28:29]
	v_add_f64 v[66:67], v[80:81], v[12:13]
	v_add_f64 v[89:90], v[22:23], v[32:33]
	;; [unrolled: 1-line block ×3, first 2 shown]
	v_add_f64 v[22:23], v[22:23], -v[32:33]
	v_add_f64 v[93:94], v[128:129], v[14:15]
	v_add_f64 v[68:69], v[14:15], v[16:17]
	v_add_f64 v[0:1], v[0:1], -v[6:7]
	v_add_f64 v[91:92], v[4:5], v[18:19]
	v_add_f64 v[121:122], v[58:59], v[26:27]
	;; [unrolled: 1-line block ×4, first 2 shown]
	v_fma_f64 v[48:49], v[48:49], -0.5, v[130:131]
	v_add_f64 v[26:27], v[26:27], -v[36:37]
	v_add_f64 v[134:135], v[34:35], v[30:31]
	v_add_f64 v[38:39], v[50:51], v[40:41]
	;; [unrolled: 1-line block ×4, first 2 shown]
	v_fma_f64 v[44:45], v[44:45], -0.5, v[126:127]
	v_fma_f64 v[42:43], v[46:47], -0.5, v[42:43]
	;; [unrolled: 1-line block ×3, first 2 shown]
	v_add_f64 v[34:35], v[34:35], -v[30:31]
	v_add_f64 v[2:3], v[2:3], -v[8:9]
	;; [unrolled: 1-line block ×5, first 2 shown]
	v_add_f64 v[8:9], v[54:55], v[8:9]
	v_fma_f64 v[50:51], v[60:61], -0.5, v[64:65]
	v_fma_f64 v[40:41], v[68:69], -0.5, v[128:129]
	v_add_f64 v[28:29], v[56:57], v[28:29]
	v_fma_f64 v[52:53], v[91:92], -0.5, v[132:133]
	v_fma_f64 v[54:55], v[89:90], -0.5, v[87:88]
	v_add_f64 v[10:11], v[66:67], v[10:11]
	v_fma_f64 v[56:57], v[123:124], -0.5, v[58:59]
	v_add_f64 v[16:17], v[93:94], v[16:17]
	v_add_f64 v[32:33], v[85:86], v[32:33]
	v_fma_f64 v[58:59], v[134:135], -0.5, v[62:63]
	v_add_f64 v[36:37], v[121:122], v[36:37]
	v_add_f64 v[18:19], v[136:137], v[18:19]
	;; [unrolled: 1-line block ×3, first 2 shown]
	v_fma_f64 v[60:61], v[20:21], s[4:5], v[44:45]
	v_fma_f64 v[20:21], v[20:21], s[6:7], v[44:45]
	v_fma_f64 v[44:45], v[24:25], s[4:5], v[48:49]
	v_fma_f64 v[24:25], v[24:25], s[6:7], v[48:49]
	v_fma_f64 v[62:63], v[22:23], s[4:5], v[46:47]
	v_fma_f64 v[22:23], v[22:23], s[6:7], v[46:47]
	v_fma_f64 v[48:49], v[0:1], s[6:7], v[42:43]
	v_fma_f64 v[42:43], v[0:1], s[4:5], v[42:43]
	v_fma_f64 v[0:1], v[26:27], s[4:5], v[40:41]
	v_fma_f64 v[26:27], v[26:27], s[6:7], v[40:41]
	v_fma_f64 v[46:47], v[34:35], s[4:5], v[52:53]
	v_fma_f64 v[34:35], v[34:35], s[6:7], v[52:53]
	v_fma_f64 v[40:41], v[2:3], s[6:7], v[50:51]
	v_fma_f64 v[50:51], v[2:3], s[4:5], v[50:51]
	v_fma_f64 v[52:53], v[12:13], s[6:7], v[54:55]
	v_fma_f64 v[54:55], v[12:13], s[4:5], v[54:55]
	v_fma_f64 v[80:81], v[14:15], s[6:7], v[56:57]
	v_fma_f64 v[56:57], v[14:15], s[4:5], v[56:57]
	v_fma_f64 v[85:86], v[4:5], s[6:7], v[58:59]
	v_fma_f64 v[58:59], v[4:5], s[4:5], v[58:59]
	ds_write_b64 v115, v[6:7]
	ds_write_b64 v115, v[60:61] offset:3000
	ds_write_b64 v115, v[20:21] offset:6000
	ds_write_b64 v82, v[8:9]
	ds_write_b64 v82, v[44:45] offset:3000
	ds_write_b64 v82, v[24:25] offset:6000
	;; [unrolled: 1-line block ×5, first 2 shown]
	ds_write_b64 v78, v[16:17]
	ds_write_b64 v78, v[0:1] offset:3000
	ds_write_b64 v78, v[26:27] offset:6000
	ds_write_b64 v95, v[18:19] offset:18000
	ds_write_b64 v95, v[46:47] offset:21000
	ds_write_b64 v95, v[34:35] offset:24000
	s_waitcnt lgkmcnt(0)
	s_barrier
	buffer_gl0_inv
	ds_read2_b64 v[0:3], v72 offset0:5 offset1:230
	ds_read2_b64 v[16:19], v75 offset0:9 offset1:234
	;; [unrolled: 1-line block ×3, first 2 shown]
	ds_read_b64 v[60:61], v120
	ds_read2_b64 v[8:11], v73 offset0:7 offset1:232
	ds_read_b64 v[68:69], v115
	ds_read_b64 v[62:63], v116
	ds_read2_b64 v[12:15], v74 offset0:13 offset1:238
	ds_read_b64 v[66:67], v119
	ds_read_b64 v[64:65], v70
	s_waitcnt lgkmcnt(0)
	s_barrier
	buffer_gl0_inv
	ds_write_b64 v115, v[38:39]
	ds_write_b64 v115, v[48:49] offset:3000
	ds_write_b64 v115, v[42:43] offset:6000
	ds_write_b64 v82, v[28:29]
	ds_write_b64 v82, v[40:41] offset:3000
	ds_write_b64 v82, v[50:51] offset:6000
	;; [unrolled: 1-line block ×5, first 2 shown]
	ds_write_b64 v78, v[36:37]
	ds_write_b64 v78, v[80:81] offset:3000
	ds_write_b64 v78, v[56:57] offset:6000
	;; [unrolled: 1-line block ×5, first 2 shown]
	s_waitcnt lgkmcnt(0)
	s_barrier
	buffer_gl0_inv
	s_and_saveexec_b32 s0, vcc_lo
	s_cbranch_execz .LBB0_15
; %bb.14:
	v_lshlrev_b32_e32 v78, 1, v112
	v_add_co_u32 v22, vcc_lo, 0x4600, v83
	v_add_co_ci_u32_e32 v23, vcc_lo, 0, v84, vcc_lo
	v_lshlrev_b64 v[20:21], 4, v[78:79]
	v_lshlrev_b32_e32 v78, 1, v111
	v_sub_nc_u32_e32 v140, 0, v118
	v_mad_u64_u32 v[94:95], null, s2, v99, 0
	v_mad_u64_u32 v[118:119], null, s2, v100, 0
	v_add_co_u32 v30, vcc_lo, s8, v20
	v_add_co_ci_u32_e32 v31, vcc_lo, s9, v21, vcc_lo
	v_add_co_u32 v20, vcc_lo, 0x4000, v83
	v_add_co_ci_u32_e32 v21, vcc_lo, 0, v84, vcc_lo
	v_lshlrev_b64 v[24:25], 4, v[78:79]
	v_add_co_u32 v26, vcc_lo, 0x4000, v30
	v_add_co_ci_u32_e32 v27, vcc_lo, 0, v31, vcc_lo
	v_add_co_u32 v30, vcc_lo, 0x4600, v30
	v_add_co_ci_u32_e32 v31, vcc_lo, 0, v31, vcc_lo
	v_lshlrev_b32_e32 v78, 1, v110
	v_add_co_u32 v34, vcc_lo, s8, v24
	v_add_co_ci_u32_e32 v35, vcc_lo, s9, v25, vcc_lo
	v_lshlrev_b64 v[28:29], 4, v[78:79]
	v_add_co_u32 v32, vcc_lo, 0x4600, v34
	v_add_co_ci_u32_e32 v33, vcc_lo, 0, v35, vcc_lo
	s_clause 0x3
	global_load_dwordx4 v[44:47], v[22:23], off offset:16
	global_load_dwordx4 v[20:23], v[20:21], off offset:1536
	;; [unrolled: 1-line block ×4, first 2 shown]
	v_add_co_u32 v30, vcc_lo, 0x4000, v34
	v_add_co_ci_u32_e32 v31, vcc_lo, 0, v35, vcc_lo
	v_lshlrev_b32_e32 v78, 1, v109
	v_add_co_u32 v40, vcc_lo, s8, v28
	v_add_co_ci_u32_e32 v41, vcc_lo, s9, v29, vcc_lo
	v_lshlrev_b64 v[36:37], 4, v[78:79]
	v_add_co_u32 v38, vcc_lo, 0x4600, v40
	v_add_co_ci_u32_e32 v39, vcc_lo, 0, v41, vcc_lo
	v_add_co_u32 v40, vcc_lo, 0x4000, v40
	v_add_co_ci_u32_e32 v41, vcc_lo, 0, v41, vcc_lo
	;; [unrolled: 2-line block ×3, first 2 shown]
	s_clause 0x1
	global_load_dwordx4 v[28:31], v[30:31], off offset:1536
	global_load_dwordx4 v[32:35], v[32:33], off offset:16
	v_add_co_u32 v48, vcc_lo, 0x4000, v50
	v_add_co_ci_u32_e32 v49, vcc_lo, 0, v51, vcc_lo
	v_add_co_u32 v52, vcc_lo, 0x4600, v50
	v_add_co_ci_u32_e32 v53, vcc_lo, 0, v51, vcc_lo
	s_clause 0x3
	global_load_dwordx4 v[40:43], v[40:41], off offset:1536
	global_load_dwordx4 v[36:39], v[38:39], off offset:16
	;; [unrolled: 1-line block ×4, first 2 shown]
	ds_read2_b64 v[78:81], v75 offset0:9 offset1:234
	ds_read2_b64 v[82:85], v74 offset0:13 offset1:238
	;; [unrolled: 1-line block ×5, first 2 shown]
	v_add_co_u32 v75, vcc_lo, s12, v76
	v_add_co_ci_u32_e32 v76, vcc_lo, s13, v77, vcc_lo
	v_mad_u64_u32 v[109:110], null, s2, v108, 0
	v_sub_nc_u32_e32 v77, 0, v117
	ds_read_b64 v[136:137], v70
	ds_read_b64 v[116:117], v116
	;; [unrolled: 1-line block ×3, first 2 shown]
	v_mad_u64_u32 v[111:112], null, s2, v106, 0
	v_mad_u64_u32 v[120:121], null, s2, v105, 0
	;; [unrolled: 1-line block ×5, first 2 shown]
	v_mul_hi_u32 v144, 0xe90452d5, v98
	v_mad_u64_u32 v[130:131], null, s2, v96, 0
	v_mad_u64_u32 v[132:133], null, s2, v104, 0
	v_add_nc_u32_e32 v149, v113, v77
	v_mov_b32_e32 v70, v95
	v_mov_b32_e32 v77, v110
	;; [unrolled: 1-line block ×3, first 2 shown]
	v_mad_u64_u32 v[128:129], null, s2, v102, 0
	v_mov_b32_e32 v95, v112
	v_mov_b32_e32 v112, v121
	;; [unrolled: 1-line block ×3, first 2 shown]
	v_add_nc_u32_e32 v148, v114, v140
	v_mov_b32_e32 v114, v125
	s_waitcnt lgkmcnt(3)
	v_mad_u64_u32 v[140:141], null, s3, v99, v[70:71]
	v_mad_u64_u32 v[99:100], null, s3, v100, v[110:111]
	v_mov_b32_e32 v115, v127
	v_lshrrev_b32_e32 v100, 10, v144
	v_mov_b32_e32 v70, v131
	v_mad_u64_u32 v[134:135], null, s2, v101, 0
	v_mad_u64_u32 v[141:142], null, s3, v108, v[77:78]
	v_mov_b32_e32 v77, v133
	v_mad_u64_u32 v[142:143], null, s3, v106, v[95:96]
	v_mad_u64_u32 v[105:106], null, s3, v105, v[112:113]
	;; [unrolled: 3-line block ×3, first 2 shown]
	s_waitcnt lgkmcnt(1)
	v_mad_u64_u32 v[113:114], null, s3, v103, v[115:116]
	v_mad_u32_u24 v115, 0x8ca, v100, v98
	v_mad_u64_u32 v[96:97], null, s3, v96, v[70:71]
	v_mad_u64_u32 v[97:98], null, s3, v104, v[77:78]
	v_mad_u64_u32 v[102:103], null, s3, v102, v[119:120]
	v_mov_b32_e32 v95, v135
	v_mad_u64_u32 v[103:104], null, s2, v115, 0
	v_add_nc_u32_e32 v143, 0x465, v115
	v_mov_b32_e32 v131, v96
	v_mad_u64_u32 v[100:101], null, s3, v101, v[95:96]
	v_mov_b32_e32 v133, v97
	v_mad_u64_u32 v[96:97], null, s2, v143, 0
	v_mov_b32_e32 v110, v141
	v_mov_b32_e32 v121, v105
	;; [unrolled: 1-line block ×8, first 2 shown]
	v_lshlrev_b64 v[100:101], 4, v[109:110]
	v_lshlrev_b64 v[109:110], 4, v[120:121]
	;; [unrolled: 1-line block ×3, first 2 shown]
	v_mad_u64_u32 v[128:129], null, s3, v115, v[70:71]
	v_mov_b32_e32 v70, v97
	v_mov_b32_e32 v127, v113
	v_lshlrev_b64 v[105:106], 4, v[111:112]
	v_lshlrev_b64 v[111:112], 4, v[122:123]
	;; [unrolled: 1-line block ×5, first 2 shown]
	v_mad_u64_u32 v[131:132], null, s3, v143, v[70:71]
	v_add_nc_u32_e32 v144, 0x8ca, v115
	v_mov_b32_e32 v119, v99
	v_mov_b32_e32 v95, v140
	;; [unrolled: 1-line block ×3, first 2 shown]
	v_mad_u64_u32 v[98:99], null, s2, v144, 0
	v_lshlrev_b64 v[107:108], 4, v[118:119]
	v_lshlrev_b64 v[118:119], 4, v[126:127]
	;; [unrolled: 1-line block ×4, first 2 shown]
	v_mov_b32_e32 v97, v131
	v_lshlrev_b64 v[102:103], 4, v[103:104]
	v_mov_b32_e32 v77, v99
	v_add_co_u32 v94, vcc_lo, v75, v94
	v_mad_u64_u32 v[134:135], null, s3, v144, v[77:78]
	v_add_co_ci_u32_e32 v95, vcc_lo, v76, v95, vcc_lo
	v_add_co_u32 v100, vcc_lo, v75, v100
	v_add_co_ci_u32_e32 v101, vcc_lo, v76, v101, vcc_lo
	v_add_co_u32 v105, vcc_lo, v75, v105
	;; [unrolled: 2-line block ×12, first 2 shown]
	v_mov_b32_e32 v99, v134
	v_lshlrev_b64 v[96:97], 4, v[96:97]
	v_lshlrev_b64 v[98:99], 4, v[98:99]
	s_waitcnt vmcnt(9)
	v_mul_f64 v[129:130], v[18:19], v[46:47]
	v_mul_f64 v[46:47], v[80:81], v[46:47]
	s_waitcnt vmcnt(7)
	v_mul_f64 v[132:133], v[16:17], v[58:59]
	v_mul_f64 v[58:59], v[78:79], v[58:59]
	;; [unrolled: 1-line block ×4, first 2 shown]
	s_waitcnt vmcnt(6)
	v_mul_f64 v[142:143], v[14:15], v[26:27]
	v_mul_f64 v[26:27], v[84:85], v[26:27]
	v_fma_f64 v[80:81], v[80:81], v[44:45], -v[129:130]
	v_fma_f64 v[18:19], v[18:19], v[44:45], v[46:47]
	s_waitcnt vmcnt(5)
	v_mul_f64 v[146:147], v[10:11], v[30:31]
	s_waitcnt vmcnt(4)
	v_mul_f64 v[144:145], v[12:13], v[34:35]
	v_mul_f64 v[30:31], v[88:89], v[30:31]
	;; [unrolled: 1-line block ×3, first 2 shown]
	v_fma_f64 v[77:78], v[78:79], v[56:57], -v[132:133]
	v_fma_f64 v[16:17], v[16:17], v[56:57], v[58:59]
	v_fma_f64 v[90:91], v[90:91], v[20:21], -v[140:141]
	v_fma_f64 v[0:1], v[0:1], v[20:21], v[22:23]
	v_fma_f64 v[20:21], v[84:85], v[24:25], -v[142:143]
	s_waitcnt vmcnt(3)
	v_mul_f64 v[44:45], v[8:9], v[42:43]
	s_waitcnt vmcnt(2)
	v_mul_f64 v[46:47], v[6:7], v[38:39]
	v_mul_f64 v[42:43], v[86:87], v[42:43]
	s_waitcnt vmcnt(1)
	v_mul_f64 v[128:129], v[2:3], v[50:51]
	s_waitcnt vmcnt(0)
	v_mul_f64 v[56:57], v[4:5], v[54:55]
	v_mul_f64 v[50:51], v[92:93], v[50:51]
	;; [unrolled: 1-line block ×4, first 2 shown]
	v_fma_f64 v[14:15], v[14:15], v[24:25], v[26:27]
	ds_read_b64 v[58:59], v148
	ds_read_b64 v[130:131], v149
	v_fma_f64 v[24:25], v[88:89], v[28:29], -v[146:147]
	v_fma_f64 v[22:23], v[82:83], v[32:33], -v[144:145]
	v_fma_f64 v[10:11], v[10:11], v[28:29], v[30:31]
	v_fma_f64 v[12:13], v[12:13], v[32:33], v[34:35]
	v_fma_f64 v[26:27], v[86:87], v[40:41], -v[44:45]
	v_fma_f64 v[28:29], v[73:74], v[36:37], -v[46:47]
	v_fma_f64 v[8:9], v[8:9], v[40:41], v[42:43]
	v_fma_f64 v[30:31], v[92:93], v[48:49], -v[128:129]
	v_fma_f64 v[32:33], v[71:72], v[52:53], -v[56:57]
	v_fma_f64 v[34:35], v[2:3], v[48:49], v[50:51]
	v_fma_f64 v[40:41], v[4:5], v[52:53], v[54:55]
	;; [unrolled: 1-line block ×3, first 2 shown]
	v_add_f64 v[2:3], v[90:91], v[80:81]
	v_add_f64 v[6:7], v[0:1], v[18:19]
	;; [unrolled: 1-line block ×5, first 2 shown]
	v_add_f64 v[72:73], v[77:78], -v[20:21]
	v_add_f64 v[54:55], v[24:25], v[22:23]
	s_waitcnt lgkmcnt(2)
	v_add_f64 v[4:5], v[138:139], v[90:91]
	v_add_f64 v[44:45], v[90:91], -v[80:81]
	v_add_f64 v[88:89], v[10:11], v[12:13]
	v_add_f64 v[52:53], v[16:17], v[14:15]
	v_add_co_ci_u32_e32 v71, vcc_lo, v76, v103, vcc_lo
	v_add_f64 v[42:43], v[0:1], -v[18:19]
	v_add_f64 v[48:49], v[16:17], -v[14:15]
	v_add_f64 v[56:57], v[26:27], v[28:29]
	v_add_f64 v[16:17], v[64:65], v[16:17]
	;; [unrolled: 1-line block ×4, first 2 shown]
	v_add_f64 v[92:93], v[24:25], -v[22:23]
	v_add_f64 v[84:85], v[34:35], v[40:41]
	v_add_f64 v[90:91], v[8:9], v[36:37]
	v_fma_f64 v[102:103], v[2:3], -0.5, v[138:139]
	v_fma_f64 v[68:69], v[6:7], -0.5, v[68:69]
	v_add_f64 v[24:25], v[62:63], v[10:11]
	v_add_f64 v[0:1], v[38:39], v[18:19]
	s_waitcnt lgkmcnt(1)
	v_add_f64 v[38:39], v[58:59], v[26:27]
	v_add_f64 v[128:129], v[26:27], -v[28:29]
	v_add_f64 v[26:27], v[60:61], v[8:9]
	s_waitcnt lgkmcnt(0)
	v_add_f64 v[132:133], v[130:131], v[30:31]
	v_add_f64 v[134:135], v[66:67], v[34:35]
	v_fma_f64 v[46:47], v[46:47], -0.5, v[136:137]
	v_add_f64 v[136:137], v[34:35], -v[40:41]
	v_fma_f64 v[115:116], v[54:55], -0.5, v[116:117]
	v_add_f64 v[2:3], v[4:5], v[80:81]
	v_add_f64 v[79:80], v[8:9], -v[36:37]
	v_add_f64 v[82:83], v[10:11], -v[12:13]
	v_fma_f64 v[54:55], v[56:57], -0.5, v[58:59]
	v_add_f64 v[58:59], v[30:31], -v[32:33]
	v_fma_f64 v[62:63], v[88:89], -0.5, v[62:63]
	v_fma_f64 v[56:57], v[77:78], -0.5, v[130:131]
	;; [unrolled: 1-line block ×5, first 2 shown]
	v_add_f64 v[4:5], v[16:17], v[14:15]
	v_fma_f64 v[18:19], v[42:43], s[6:7], v[102:103]
	v_fma_f64 v[16:17], v[44:45], s[4:5], v[68:69]
	v_add_f64 v[8:9], v[24:25], v[12:13]
	v_fma_f64 v[14:15], v[42:43], s[4:5], v[102:103]
	v_fma_f64 v[12:13], v[44:45], s[6:7], v[68:69]
	v_add_f64 v[6:7], v[50:51], v[20:21]
	v_add_f64 v[20:21], v[26:27], v[36:37]
	v_add_f64 v[26:27], v[132:133], v[32:33]
	v_add_f64 v[24:25], v[134:135], v[40:41]
	v_fma_f64 v[30:31], v[48:49], s[4:5], v[46:47]
	v_fma_f64 v[34:35], v[48:49], s[6:7], v[46:47]
	v_add_f64 v[10:11], v[86:87], v[22:23]
	v_add_f64 v[22:23], v[38:39], v[28:29]
	v_fma_f64 v[38:39], v[82:83], s[4:5], v[115:116]
	v_fma_f64 v[42:43], v[79:80], s[4:5], v[54:55]
	;; [unrolled: 1-line block ×14, first 2 shown]
	v_add_co_u32 v60, vcc_lo, v75, v96
	v_add_co_ci_u32_e32 v61, vcc_lo, v76, v97, vcc_lo
	v_add_co_u32 v62, vcc_lo, v75, v98
	v_add_co_ci_u32_e32 v63, vcc_lo, v76, v99, vcc_lo
	global_store_dwordx4 v[94:95], v[0:3], off
	global_store_dwordx4 v[100:101], v[16:19], off
	global_store_dwordx4 v[105:106], v[12:15], off
	global_store_dwordx4 v[107:108], v[24:27], off
	global_store_dwordx4 v[109:110], v[48:51], off
	global_store_dwordx4 v[111:112], v[44:47], off
	global_store_dwordx4 v[113:114], v[20:23], off
	global_store_dwordx4 v[118:119], v[52:55], off
	global_store_dwordx4 v[120:121], v[40:43], off
	global_store_dwordx4 v[122:123], v[8:11], off
	global_store_dwordx4 v[124:125], v[56:59], off
	global_store_dwordx4 v[126:127], v[36:39], off
	global_store_dwordx4 v[70:71], v[4:7], off
	global_store_dwordx4 v[60:61], v[32:35], off
	global_store_dwordx4 v[62:63], v[28:31], off
.LBB0_15:
	s_endpgm
	.section	.rodata,"a",@progbits
	.p2align	6, 0x0
	.amdhsa_kernel fft_rtc_back_len3375_factors_5_5_5_3_3_3_wgs_225_tpt_225_halfLds_dp_ip_CI_sbrr_dirReg
		.amdhsa_group_segment_fixed_size 0
		.amdhsa_private_segment_fixed_size 0
		.amdhsa_kernarg_size 88
		.amdhsa_user_sgpr_count 6
		.amdhsa_user_sgpr_private_segment_buffer 1
		.amdhsa_user_sgpr_dispatch_ptr 0
		.amdhsa_user_sgpr_queue_ptr 0
		.amdhsa_user_sgpr_kernarg_segment_ptr 1
		.amdhsa_user_sgpr_dispatch_id 0
		.amdhsa_user_sgpr_flat_scratch_init 0
		.amdhsa_user_sgpr_private_segment_size 0
		.amdhsa_wavefront_size32 1
		.amdhsa_uses_dynamic_stack 0
		.amdhsa_system_sgpr_private_segment_wavefront_offset 0
		.amdhsa_system_sgpr_workgroup_id_x 1
		.amdhsa_system_sgpr_workgroup_id_y 0
		.amdhsa_system_sgpr_workgroup_id_z 0
		.amdhsa_system_sgpr_workgroup_info 0
		.amdhsa_system_vgpr_workitem_id 0
		.amdhsa_next_free_vgpr 160
		.amdhsa_next_free_sgpr 23
		.amdhsa_reserve_vcc 1
		.amdhsa_reserve_flat_scratch 0
		.amdhsa_float_round_mode_32 0
		.amdhsa_float_round_mode_16_64 0
		.amdhsa_float_denorm_mode_32 3
		.amdhsa_float_denorm_mode_16_64 3
		.amdhsa_dx10_clamp 1
		.amdhsa_ieee_mode 1
		.amdhsa_fp16_overflow 0
		.amdhsa_workgroup_processor_mode 1
		.amdhsa_memory_ordered 1
		.amdhsa_forward_progress 0
		.amdhsa_shared_vgpr_count 0
		.amdhsa_exception_fp_ieee_invalid_op 0
		.amdhsa_exception_fp_denorm_src 0
		.amdhsa_exception_fp_ieee_div_zero 0
		.amdhsa_exception_fp_ieee_overflow 0
		.amdhsa_exception_fp_ieee_underflow 0
		.amdhsa_exception_fp_ieee_inexact 0
		.amdhsa_exception_int_div_zero 0
	.end_amdhsa_kernel
	.text
.Lfunc_end0:
	.size	fft_rtc_back_len3375_factors_5_5_5_3_3_3_wgs_225_tpt_225_halfLds_dp_ip_CI_sbrr_dirReg, .Lfunc_end0-fft_rtc_back_len3375_factors_5_5_5_3_3_3_wgs_225_tpt_225_halfLds_dp_ip_CI_sbrr_dirReg
                                        ; -- End function
	.section	.AMDGPU.csdata,"",@progbits
; Kernel info:
; codeLenInByte = 15256
; NumSgprs: 25
; NumVgprs: 160
; ScratchSize: 0
; MemoryBound: 1
; FloatMode: 240
; IeeeMode: 1
; LDSByteSize: 0 bytes/workgroup (compile time only)
; SGPRBlocks: 3
; VGPRBlocks: 19
; NumSGPRsForWavesPerEU: 25
; NumVGPRsForWavesPerEU: 160
; Occupancy: 6
; WaveLimiterHint : 1
; COMPUTE_PGM_RSRC2:SCRATCH_EN: 0
; COMPUTE_PGM_RSRC2:USER_SGPR: 6
; COMPUTE_PGM_RSRC2:TRAP_HANDLER: 0
; COMPUTE_PGM_RSRC2:TGID_X_EN: 1
; COMPUTE_PGM_RSRC2:TGID_Y_EN: 0
; COMPUTE_PGM_RSRC2:TGID_Z_EN: 0
; COMPUTE_PGM_RSRC2:TIDIG_COMP_CNT: 0
	.text
	.p2alignl 6, 3214868480
	.fill 48, 4, 3214868480
	.type	__hip_cuid_e06909f3b82e16f6,@object ; @__hip_cuid_e06909f3b82e16f6
	.section	.bss,"aw",@nobits
	.globl	__hip_cuid_e06909f3b82e16f6
__hip_cuid_e06909f3b82e16f6:
	.byte	0                               ; 0x0
	.size	__hip_cuid_e06909f3b82e16f6, 1

	.ident	"AMD clang version 19.0.0git (https://github.com/RadeonOpenCompute/llvm-project roc-6.4.0 25133 c7fe45cf4b819c5991fe208aaa96edf142730f1d)"
	.section	".note.GNU-stack","",@progbits
	.addrsig
	.addrsig_sym __hip_cuid_e06909f3b82e16f6
	.amdgpu_metadata
---
amdhsa.kernels:
  - .args:
      - .actual_access:  read_only
        .address_space:  global
        .offset:         0
        .size:           8
        .value_kind:     global_buffer
      - .offset:         8
        .size:           8
        .value_kind:     by_value
      - .actual_access:  read_only
        .address_space:  global
        .offset:         16
        .size:           8
        .value_kind:     global_buffer
      - .actual_access:  read_only
        .address_space:  global
        .offset:         24
        .size:           8
        .value_kind:     global_buffer
      - .offset:         32
        .size:           8
        .value_kind:     by_value
      - .actual_access:  read_only
        .address_space:  global
        .offset:         40
        .size:           8
        .value_kind:     global_buffer
      - .actual_access:  read_only
        .address_space:  global
        .offset:         48
        .size:           8
        .value_kind:     global_buffer
      - .offset:         56
        .size:           4
        .value_kind:     by_value
      - .actual_access:  read_only
        .address_space:  global
        .offset:         64
        .size:           8
        .value_kind:     global_buffer
      - .actual_access:  read_only
        .address_space:  global
        .offset:         72
        .size:           8
        .value_kind:     global_buffer
      - .address_space:  global
        .offset:         80
        .size:           8
        .value_kind:     global_buffer
    .group_segment_fixed_size: 0
    .kernarg_segment_align: 8
    .kernarg_segment_size: 88
    .language:       OpenCL C
    .language_version:
      - 2
      - 0
    .max_flat_workgroup_size: 225
    .name:           fft_rtc_back_len3375_factors_5_5_5_3_3_3_wgs_225_tpt_225_halfLds_dp_ip_CI_sbrr_dirReg
    .private_segment_fixed_size: 0
    .sgpr_count:     25
    .sgpr_spill_count: 0
    .symbol:         fft_rtc_back_len3375_factors_5_5_5_3_3_3_wgs_225_tpt_225_halfLds_dp_ip_CI_sbrr_dirReg.kd
    .uniform_work_group_size: 1
    .uses_dynamic_stack: false
    .vgpr_count:     160
    .vgpr_spill_count: 0
    .wavefront_size: 32
    .workgroup_processor_mode: 1
amdhsa.target:   amdgcn-amd-amdhsa--gfx1030
amdhsa.version:
  - 1
  - 2
...

	.end_amdgpu_metadata
